;; amdgpu-corpus repo=ROCm/rocFFT kind=compiled arch=gfx1201 opt=O3
	.text
	.amdgcn_target "amdgcn-amd-amdhsa--gfx1201"
	.amdhsa_code_object_version 6
	.protected	fft_rtc_fwd_len1716_factors_13_2_6_11_wgs_156_tpt_156_dp_op_CI_CI_sbrr_dirReg ; -- Begin function fft_rtc_fwd_len1716_factors_13_2_6_11_wgs_156_tpt_156_dp_op_CI_CI_sbrr_dirReg
	.globl	fft_rtc_fwd_len1716_factors_13_2_6_11_wgs_156_tpt_156_dp_op_CI_CI_sbrr_dirReg
	.p2align	8
	.type	fft_rtc_fwd_len1716_factors_13_2_6_11_wgs_156_tpt_156_dp_op_CI_CI_sbrr_dirReg,@function
fft_rtc_fwd_len1716_factors_13_2_6_11_wgs_156_tpt_156_dp_op_CI_CI_sbrr_dirReg: ; @fft_rtc_fwd_len1716_factors_13_2_6_11_wgs_156_tpt_156_dp_op_CI_CI_sbrr_dirReg
; %bb.0:
	s_clause 0x2
	s_load_b128 s[12:15], s[0:1], 0x18
	s_load_b128 s[8:11], s[0:1], 0x0
	;; [unrolled: 1-line block ×3, first 2 shown]
	v_mul_u32_u24_e32 v1, 0x1a5, v0
	v_mov_b32_e32 v3, 0
	s_wait_kmcnt 0x0
	s_load_b64 s[18:19], s[12:13], 0x0
	s_load_b64 s[16:17], s[14:15], 0x0
	v_lshrrev_b32_e32 v1, 16, v1
	v_cmp_lt_u64_e64 s2, s[10:11], 2
	s_delay_alu instid0(VALU_DEP_2)
	v_add_nc_u32_e32 v5, ttmp9, v1
	v_mov_b32_e32 v1, 0
	v_mov_b32_e32 v2, 0
	;; [unrolled: 1-line block ×3, first 2 shown]
	s_and_b32 vcc_lo, exec_lo, s2
	s_cbranch_vccnz .LBB0_8
; %bb.1:
	s_load_b64 s[2:3], s[0:1], 0x10
	v_mov_b32_e32 v1, 0
	v_mov_b32_e32 v2, 0
	s_add_nc_u64 s[20:21], s[14:15], 8
	s_add_nc_u64 s[22:23], s[12:13], 8
	s_mov_b64 s[24:25], 1
	s_delay_alu instid0(VALU_DEP_1)
	v_dual_mov_b32 v85, v2 :: v_dual_mov_b32 v84, v1
	s_wait_kmcnt 0x0
	s_add_nc_u64 s[26:27], s[2:3], 8
	s_mov_b32 s3, 0
.LBB0_2:                                ; =>This Inner Loop Header: Depth=1
	s_load_b64 s[28:29], s[26:27], 0x0
                                        ; implicit-def: $vgpr60_vgpr61
	s_mov_b32 s2, exec_lo
	s_wait_kmcnt 0x0
	v_or_b32_e32 v4, s29, v6
	s_delay_alu instid0(VALU_DEP_1)
	v_cmpx_ne_u64_e32 0, v[3:4]
	s_wait_alu 0xfffe
	s_xor_b32 s30, exec_lo, s2
	s_cbranch_execz .LBB0_4
; %bb.3:                                ;   in Loop: Header=BB0_2 Depth=1
	s_cvt_f32_u32 s2, s28
	s_cvt_f32_u32 s31, s29
	s_sub_nc_u64 s[36:37], 0, s[28:29]
	s_wait_alu 0xfffe
	s_delay_alu instid0(SALU_CYCLE_1) | instskip(SKIP_1) | instid1(SALU_CYCLE_2)
	s_fmamk_f32 s2, s31, 0x4f800000, s2
	s_wait_alu 0xfffe
	v_s_rcp_f32 s2, s2
	s_delay_alu instid0(TRANS32_DEP_1) | instskip(SKIP_1) | instid1(SALU_CYCLE_2)
	s_mul_f32 s2, s2, 0x5f7ffffc
	s_wait_alu 0xfffe
	s_mul_f32 s31, s2, 0x2f800000
	s_wait_alu 0xfffe
	s_delay_alu instid0(SALU_CYCLE_2) | instskip(SKIP_1) | instid1(SALU_CYCLE_2)
	s_trunc_f32 s31, s31
	s_wait_alu 0xfffe
	s_fmamk_f32 s2, s31, 0xcf800000, s2
	s_cvt_u32_f32 s35, s31
	s_wait_alu 0xfffe
	s_delay_alu instid0(SALU_CYCLE_1) | instskip(SKIP_1) | instid1(SALU_CYCLE_2)
	s_cvt_u32_f32 s34, s2
	s_wait_alu 0xfffe
	s_mul_u64 s[38:39], s[36:37], s[34:35]
	s_wait_alu 0xfffe
	s_mul_hi_u32 s41, s34, s39
	s_mul_i32 s40, s34, s39
	s_mul_hi_u32 s2, s34, s38
	s_mul_i32 s33, s35, s38
	s_wait_alu 0xfffe
	s_add_nc_u64 s[40:41], s[2:3], s[40:41]
	s_mul_hi_u32 s31, s35, s38
	s_mul_hi_u32 s42, s35, s39
	s_add_co_u32 s2, s40, s33
	s_wait_alu 0xfffe
	s_add_co_ci_u32 s2, s41, s31
	s_mul_i32 s38, s35, s39
	s_add_co_ci_u32 s39, s42, 0
	s_wait_alu 0xfffe
	s_add_nc_u64 s[38:39], s[2:3], s[38:39]
	s_wait_alu 0xfffe
	v_add_co_u32 v4, s2, s34, s38
	s_delay_alu instid0(VALU_DEP_1) | instskip(SKIP_1) | instid1(VALU_DEP_1)
	s_cmp_lg_u32 s2, 0
	s_add_co_ci_u32 s35, s35, s39
	v_readfirstlane_b32 s34, v4
	s_wait_alu 0xfffe
	s_delay_alu instid0(VALU_DEP_1)
	s_mul_u64 s[36:37], s[36:37], s[34:35]
	s_wait_alu 0xfffe
	s_mul_hi_u32 s39, s34, s37
	s_mul_i32 s38, s34, s37
	s_mul_hi_u32 s2, s34, s36
	s_mul_i32 s33, s35, s36
	s_wait_alu 0xfffe
	s_add_nc_u64 s[38:39], s[2:3], s[38:39]
	s_mul_hi_u32 s31, s35, s36
	s_mul_hi_u32 s34, s35, s37
	s_wait_alu 0xfffe
	s_add_co_u32 s2, s38, s33
	s_add_co_ci_u32 s2, s39, s31
	s_mul_i32 s36, s35, s37
	s_add_co_ci_u32 s37, s34, 0
	s_wait_alu 0xfffe
	s_add_nc_u64 s[36:37], s[2:3], s[36:37]
	s_wait_alu 0xfffe
	v_add_co_u32 v4, s2, v4, s36
	s_delay_alu instid0(VALU_DEP_1) | instskip(SKIP_1) | instid1(VALU_DEP_1)
	s_cmp_lg_u32 s2, 0
	s_add_co_ci_u32 s2, s35, s37
	v_mul_hi_u32 v13, v5, v4
	s_wait_alu 0xfffe
	v_mad_co_u64_u32 v[7:8], null, v5, s2, 0
	v_mad_co_u64_u32 v[9:10], null, v6, v4, 0
	;; [unrolled: 1-line block ×3, first 2 shown]
	s_delay_alu instid0(VALU_DEP_3) | instskip(SKIP_1) | instid1(VALU_DEP_4)
	v_add_co_u32 v4, vcc_lo, v13, v7
	s_wait_alu 0xfffd
	v_add_co_ci_u32_e32 v7, vcc_lo, 0, v8, vcc_lo
	s_delay_alu instid0(VALU_DEP_2) | instskip(SKIP_1) | instid1(VALU_DEP_2)
	v_add_co_u32 v4, vcc_lo, v4, v9
	s_wait_alu 0xfffd
	v_add_co_ci_u32_e32 v4, vcc_lo, v7, v10, vcc_lo
	s_wait_alu 0xfffd
	v_add_co_ci_u32_e32 v7, vcc_lo, 0, v12, vcc_lo
	s_delay_alu instid0(VALU_DEP_2) | instskip(SKIP_1) | instid1(VALU_DEP_2)
	v_add_co_u32 v4, vcc_lo, v4, v11
	s_wait_alu 0xfffd
	v_add_co_ci_u32_e32 v9, vcc_lo, 0, v7, vcc_lo
	s_delay_alu instid0(VALU_DEP_2) | instskip(SKIP_1) | instid1(VALU_DEP_3)
	v_mul_lo_u32 v10, s29, v4
	v_mad_co_u64_u32 v[7:8], null, s28, v4, 0
	v_mul_lo_u32 v11, s28, v9
	s_delay_alu instid0(VALU_DEP_2) | instskip(NEXT) | instid1(VALU_DEP_2)
	v_sub_co_u32 v7, vcc_lo, v5, v7
	v_add3_u32 v8, v8, v11, v10
	s_delay_alu instid0(VALU_DEP_1) | instskip(SKIP_1) | instid1(VALU_DEP_1)
	v_sub_nc_u32_e32 v10, v6, v8
	s_wait_alu 0xfffd
	v_subrev_co_ci_u32_e64 v10, s2, s29, v10, vcc_lo
	v_add_co_u32 v11, s2, v4, 2
	s_wait_alu 0xf1ff
	v_add_co_ci_u32_e64 v12, s2, 0, v9, s2
	v_sub_co_u32 v13, s2, v7, s28
	v_sub_co_ci_u32_e32 v8, vcc_lo, v6, v8, vcc_lo
	s_wait_alu 0xf1ff
	v_subrev_co_ci_u32_e64 v10, s2, 0, v10, s2
	s_delay_alu instid0(VALU_DEP_3) | instskip(NEXT) | instid1(VALU_DEP_3)
	v_cmp_le_u32_e32 vcc_lo, s28, v13
	v_cmp_eq_u32_e64 s2, s29, v8
	s_wait_alu 0xfffd
	v_cndmask_b32_e64 v13, 0, -1, vcc_lo
	v_cmp_le_u32_e32 vcc_lo, s29, v10
	s_wait_alu 0xfffd
	v_cndmask_b32_e64 v14, 0, -1, vcc_lo
	v_cmp_le_u32_e32 vcc_lo, s28, v7
	;; [unrolled: 3-line block ×3, first 2 shown]
	s_wait_alu 0xfffd
	v_cndmask_b32_e64 v15, 0, -1, vcc_lo
	v_cmp_eq_u32_e32 vcc_lo, s29, v10
	s_wait_alu 0xf1ff
	s_delay_alu instid0(VALU_DEP_2)
	v_cndmask_b32_e64 v7, v15, v7, s2
	s_wait_alu 0xfffd
	v_cndmask_b32_e32 v10, v14, v13, vcc_lo
	v_add_co_u32 v13, vcc_lo, v4, 1
	s_wait_alu 0xfffd
	v_add_co_ci_u32_e32 v14, vcc_lo, 0, v9, vcc_lo
	s_delay_alu instid0(VALU_DEP_3) | instskip(SKIP_1) | instid1(VALU_DEP_2)
	v_cmp_ne_u32_e32 vcc_lo, 0, v10
	s_wait_alu 0xfffd
	v_cndmask_b32_e32 v8, v14, v12, vcc_lo
	v_cndmask_b32_e32 v10, v13, v11, vcc_lo
	v_cmp_ne_u32_e32 vcc_lo, 0, v7
	s_wait_alu 0xfffd
	s_delay_alu instid0(VALU_DEP_2)
	v_dual_cndmask_b32 v61, v9, v8 :: v_dual_cndmask_b32 v60, v4, v10
.LBB0_4:                                ;   in Loop: Header=BB0_2 Depth=1
	s_wait_alu 0xfffe
	s_and_not1_saveexec_b32 s2, s30
	s_cbranch_execz .LBB0_6
; %bb.5:                                ;   in Loop: Header=BB0_2 Depth=1
	v_cvt_f32_u32_e32 v4, s28
	s_sub_co_i32 s30, 0, s28
	v_mov_b32_e32 v61, v3
	s_delay_alu instid0(VALU_DEP_2) | instskip(NEXT) | instid1(TRANS32_DEP_1)
	v_rcp_iflag_f32_e32 v4, v4
	v_mul_f32_e32 v4, 0x4f7ffffe, v4
	s_delay_alu instid0(VALU_DEP_1) | instskip(SKIP_1) | instid1(VALU_DEP_1)
	v_cvt_u32_f32_e32 v4, v4
	s_wait_alu 0xfffe
	v_mul_lo_u32 v7, s30, v4
	s_delay_alu instid0(VALU_DEP_1) | instskip(NEXT) | instid1(VALU_DEP_1)
	v_mul_hi_u32 v7, v4, v7
	v_add_nc_u32_e32 v4, v4, v7
	s_delay_alu instid0(VALU_DEP_1) | instskip(NEXT) | instid1(VALU_DEP_1)
	v_mul_hi_u32 v4, v5, v4
	v_mul_lo_u32 v7, v4, s28
	v_add_nc_u32_e32 v8, 1, v4
	s_delay_alu instid0(VALU_DEP_2) | instskip(NEXT) | instid1(VALU_DEP_1)
	v_sub_nc_u32_e32 v7, v5, v7
	v_subrev_nc_u32_e32 v9, s28, v7
	v_cmp_le_u32_e32 vcc_lo, s28, v7
	s_wait_alu 0xfffd
	s_delay_alu instid0(VALU_DEP_2) | instskip(NEXT) | instid1(VALU_DEP_1)
	v_dual_cndmask_b32 v7, v7, v9 :: v_dual_cndmask_b32 v4, v4, v8
	v_cmp_le_u32_e32 vcc_lo, s28, v7
	s_delay_alu instid0(VALU_DEP_2) | instskip(SKIP_1) | instid1(VALU_DEP_1)
	v_add_nc_u32_e32 v8, 1, v4
	s_wait_alu 0xfffd
	v_cndmask_b32_e32 v60, v4, v8, vcc_lo
.LBB0_6:                                ;   in Loop: Header=BB0_2 Depth=1
	s_wait_alu 0xfffe
	s_or_b32 exec_lo, exec_lo, s2
	v_mul_lo_u32 v4, v61, s28
	s_delay_alu instid0(VALU_DEP_2)
	v_mul_lo_u32 v9, v60, s29
	s_load_b64 s[30:31], s[22:23], 0x0
	v_mad_co_u64_u32 v[7:8], null, v60, s28, 0
	s_load_b64 s[28:29], s[20:21], 0x0
	s_add_nc_u64 s[24:25], s[24:25], 1
	s_add_nc_u64 s[20:21], s[20:21], 8
	s_wait_alu 0xfffe
	v_cmp_ge_u64_e64 s2, s[24:25], s[10:11]
	s_add_nc_u64 s[22:23], s[22:23], 8
	s_add_nc_u64 s[26:27], s[26:27], 8
	v_add3_u32 v4, v8, v9, v4
	v_sub_co_u32 v5, vcc_lo, v5, v7
	s_wait_alu 0xfffd
	s_delay_alu instid0(VALU_DEP_2) | instskip(SKIP_2) | instid1(VALU_DEP_1)
	v_sub_co_ci_u32_e32 v4, vcc_lo, v6, v4, vcc_lo
	s_and_b32 vcc_lo, exec_lo, s2
	s_wait_kmcnt 0x0
	v_mul_lo_u32 v6, s30, v4
	v_mul_lo_u32 v7, s31, v5
	v_mad_co_u64_u32 v[1:2], null, s30, v5, v[1:2]
	v_mul_lo_u32 v4, s28, v4
	v_mul_lo_u32 v8, s29, v5
	v_mad_co_u64_u32 v[84:85], null, s28, v5, v[84:85]
	s_delay_alu instid0(VALU_DEP_4) | instskip(NEXT) | instid1(VALU_DEP_2)
	v_add3_u32 v2, v7, v2, v6
	v_add3_u32 v85, v8, v85, v4
	s_wait_alu 0xfffe
	s_cbranch_vccnz .LBB0_9
; %bb.7:                                ;   in Loop: Header=BB0_2 Depth=1
	v_dual_mov_b32 v5, v60 :: v_dual_mov_b32 v6, v61
	s_branch .LBB0_2
.LBB0_8:
	s_delay_alu instid0(VALU_DEP_2) | instskip(NEXT) | instid1(VALU_DEP_2)
	v_dual_mov_b32 v85, v2 :: v_dual_mov_b32 v84, v1
	v_dual_mov_b32 v61, v6 :: v_dual_mov_b32 v60, v5
.LBB0_9:
	s_load_b64 s[0:1], s[0:1], 0x28
	s_lshl_b64 s[10:11], s[10:11], 3
	v_mul_hi_u32 v3, 0x1a41a42, v0
	s_wait_alu 0xfffe
	s_add_nc_u64 s[2:3], s[14:15], s[10:11]
	v_mov_b32_e32 v160, 0
	s_load_b64 s[2:3], s[2:3], 0x0
                                        ; implicit-def: $vgpr6_vgpr7
                                        ; implicit-def: $vgpr10_vgpr11
                                        ; implicit-def: $vgpr14_vgpr15
                                        ; implicit-def: $vgpr26_vgpr27
                                        ; implicit-def: $vgpr30_vgpr31
                                        ; implicit-def: $vgpr34_vgpr35
                                        ; implicit-def: $vgpr38_vgpr39
                                        ; implicit-def: $vgpr42_vgpr43
                                        ; implicit-def: $vgpr58_vgpr59
                                        ; implicit-def: $vgpr50_vgpr51
                                        ; implicit-def: $vgpr54_vgpr55
                                        ; implicit-def: $vgpr46_vgpr47
                                        ; implicit-def: $vgpr22_vgpr23
	s_delay_alu instid0(VALU_DEP_2) | instskip(NEXT) | instid1(VALU_DEP_1)
	v_mul_u32_u24_e32 v3, 0x9c, v3
	v_sub_nc_u32_e32 v161, v0, v3
	s_wait_kmcnt 0x0
	v_cmp_gt_u64_e32 vcc_lo, s[0:1], v[60:61]
	s_and_saveexec_b32 s1, vcc_lo
	s_cbranch_execz .LBB0_13
; %bb.10:
	s_mov_b32 s14, exec_lo
                                        ; implicit-def: $vgpr20_vgpr21
                                        ; implicit-def: $vgpr44_vgpr45
                                        ; implicit-def: $vgpr52_vgpr53
                                        ; implicit-def: $vgpr48_vgpr49
                                        ; implicit-def: $vgpr56_vgpr57
                                        ; implicit-def: $vgpr40_vgpr41
                                        ; implicit-def: $vgpr36_vgpr37
                                        ; implicit-def: $vgpr32_vgpr33
                                        ; implicit-def: $vgpr28_vgpr29
                                        ; implicit-def: $vgpr24_vgpr25
                                        ; implicit-def: $vgpr12_vgpr13
                                        ; implicit-def: $vgpr8_vgpr9
                                        ; implicit-def: $vgpr4_vgpr5
	v_cmpx_gt_u32_e32 0x84, v161
	s_cbranch_execz .LBB0_12
; %bb.11:
	s_add_nc_u64 s[10:11], s[12:13], s[10:11]
	v_mad_co_u64_u32 v[3:4], null, s18, v161, 0
	s_load_b64 s[10:11], s[10:11], 0x0
	v_add_nc_u32_e32 v15, 0x84, v161
	v_add_nc_u32_e32 v16, 0x108, v161
	s_delay_alu instid0(VALU_DEP_3) | instskip(NEXT) | instid1(VALU_DEP_3)
	v_mov_b32_e32 v0, v4
	v_mad_co_u64_u32 v[5:6], null, s18, v15, 0
	v_add_nc_u32_e32 v17, 0x18c, v161
	s_delay_alu instid0(VALU_DEP_4) | instskip(NEXT) | instid1(VALU_DEP_4)
	v_mad_co_u64_u32 v[7:8], null, s18, v16, 0
	v_mad_co_u64_u32 v[13:14], null, s19, v161, v[0:1]
	v_lshlrev_b64_e32 v[0:1], 4, v[1:2]
	v_mov_b32_e32 v2, v6
	v_mad_co_u64_u32 v[11:12], null, s18, v17, 0
	v_dual_mov_b32 v6, v8 :: v_dual_add_nc_u32 v19, 0x210, v161
	s_wait_kmcnt 0x0
	v_mul_lo_u32 v4, s11, v60
	v_mul_lo_u32 v18, s10, v61
	v_mad_co_u64_u32 v[9:10], null, s10, v60, 0
	v_mov_b32_e32 v8, v12
	s_delay_alu instid0(VALU_DEP_2) | instskip(SKIP_3) | instid1(VALU_DEP_4)
	v_add3_u32 v10, v10, v18, v4
	v_mov_b32_e32 v4, v13
	v_mad_co_u64_u32 v[12:13], null, s19, v15, v[2:3]
	v_add_nc_u32_e32 v15, 0x318, v161
	v_lshlrev_b64_e32 v[9:10], 4, v[9:10]
	s_delay_alu instid0(VALU_DEP_4)
	v_lshlrev_b64_e32 v[2:3], 4, v[3:4]
	v_mad_co_u64_u32 v[13:14], null, s19, v16, v[6:7]
	v_add_nc_u32_e32 v16, 0x39c, v161
	v_mov_b32_e32 v6, v12
	v_add_co_u32 v4, s0, s4, v9
	s_wait_alu 0xf1ff
	v_add_co_ci_u32_e64 v9, s0, s5, v10, s0
	s_delay_alu instid0(VALU_DEP_2) | instskip(SKIP_1) | instid1(VALU_DEP_2)
	v_add_co_u32 v18, s0, v4, v0
	s_wait_alu 0xf1ff
	v_add_co_ci_u32_e64 v24, s0, v9, v1, s0
	v_lshlrev_b64_e32 v[0:1], 4, v[5:6]
	s_delay_alu instid0(VALU_DEP_3) | instskip(SKIP_3) | instid1(VALU_DEP_4)
	v_add_co_u32 v2, s0, v18, v2
	v_mad_co_u64_u32 v[4:5], null, s19, v17, v[8:9]
	s_wait_alu 0xf1ff
	v_add_co_ci_u32_e64 v3, s0, v24, v3, s0
	v_add_co_u32 v0, s0, v18, v0
	v_mad_co_u64_u32 v[5:6], null, s18, v19, 0
	v_dual_mov_b32 v8, v13 :: v_dual_add_nc_u32 v17, 0x5ac, v161
	v_add_nc_u32_e32 v13, 0x294, v161
	s_wait_alu 0xf1ff
	v_add_co_ci_u32_e64 v1, s0, v24, v1, s0
	s_clause 0x1
	global_load_b128 v[20:23], v[2:3], off
	global_load_b128 v[44:47], v[0:1], off
	v_mov_b32_e32 v12, v4
	v_mad_co_u64_u32 v[3:4], null, s18, v13, 0
	v_mov_b32_e32 v2, v6
	v_lshlrev_b64_e32 v[0:1], 4, v[7:8]
	s_delay_alu instid0(VALU_DEP_4) | instskip(NEXT) | instid1(VALU_DEP_3)
	v_lshlrev_b64_e32 v[6:7], 4, v[11:12]
	v_mad_co_u64_u32 v[8:9], null, s19, v19, v[2:3]
	v_add_nc_u32_e32 v19, 0x630, v161
	s_delay_alu instid0(VALU_DEP_4)
	v_add_co_u32 v0, s0, v18, v0
	v_mov_b32_e32 v2, v4
	s_wait_alu 0xf1ff
	v_add_co_ci_u32_e64 v1, s0, v24, v1, s0
	v_mad_co_u64_u32 v[9:10], null, s18, v15, 0
	v_add_co_u32 v11, s0, v18, v6
	s_wait_alu 0xf1ff
	v_add_co_ci_u32_e64 v12, s0, v24, v7, s0
	v_mov_b32_e32 v6, v8
	v_mad_co_u64_u32 v[7:8], null, s19, v13, v[2:3]
	v_mad_co_u64_u32 v[13:14], null, s18, v16, 0
	v_mov_b32_e32 v2, v10
	s_clause 0x1
	global_load_b128 v[52:55], v[0:1], off
	global_load_b128 v[48:51], v[11:12], off
	v_lshlrev_b64_e32 v[0:1], 4, v[5:6]
	v_dual_mov_b32 v4, v7 :: v_dual_add_nc_u32 v11, 0x420, v161
	v_mad_co_u64_u32 v[5:6], null, s19, v15, v[2:3]
	v_mov_b32_e32 v2, v14
	s_delay_alu instid0(VALU_DEP_4) | instskip(NEXT) | instid1(VALU_DEP_4)
	v_add_co_u32 v0, s0, v18, v0
	v_lshlrev_b64_e32 v[3:4], 4, v[3:4]
	s_wait_alu 0xf1ff
	v_add_co_ci_u32_e64 v1, s0, v24, v1, s0
	v_mov_b32_e32 v10, v5
	s_delay_alu instid0(VALU_DEP_3) | instskip(NEXT) | instid1(VALU_DEP_2)
	v_mad_co_u64_u32 v[5:6], null, s19, v16, v[2:3]
	v_lshlrev_b64_e32 v[6:7], 4, v[9:10]
	v_mad_co_u64_u32 v[8:9], null, s18, v11, 0
	v_add_co_u32 v2, s0, v18, v3
	s_wait_alu 0xf1ff
	v_add_co_ci_u32_e64 v3, s0, v24, v4, s0
	v_mov_b32_e32 v14, v5
	s_clause 0x1
	global_load_b128 v[56:59], v[0:1], off
	global_load_b128 v[40:43], v[2:3], off
	v_mov_b32_e32 v2, v9
	v_add_nc_u32_e32 v16, 0x528, v161
	v_lshlrev_b64_e32 v[3:4], 4, v[13:14]
	v_add_nc_u32_e32 v14, 0x4a4, v161
	v_add_co_u32 v0, s0, v18, v6
	s_wait_alu 0xf1ff
	v_add_co_ci_u32_e64 v1, s0, v24, v7, s0
	s_delay_alu instid0(VALU_DEP_4)
	v_mad_co_u64_u32 v[5:6], null, s19, v11, v[2:3]
	v_mad_co_u64_u32 v[6:7], null, s18, v14, 0
	;; [unrolled: 1-line block ×3, first 2 shown]
	v_add_co_u32 v2, s0, v18, v3
	s_wait_alu 0xf1ff
	v_add_co_ci_u32_e64 v3, s0, v24, v4, s0
	s_delay_alu instid0(VALU_DEP_4) | instskip(NEXT) | instid1(VALU_DEP_4)
	v_dual_mov_b32 v9, v5 :: v_dual_mov_b32 v4, v7
	v_mov_b32_e32 v5, v11
	v_mad_co_u64_u32 v[12:13], null, s18, v17, 0
	s_clause 0x1
	global_load_b128 v[36:39], v[0:1], off
	global_load_b128 v[32:35], v[2:3], off
	v_lshlrev_b64_e32 v[1:2], 4, v[8:9]
	v_mad_co_u64_u32 v[14:15], null, s19, v14, v[4:5]
	v_mad_co_u64_u32 v[4:5], null, s19, v16, v[5:6]
	;; [unrolled: 1-line block ×3, first 2 shown]
	s_delay_alu instid0(VALU_DEP_3) | instskip(NEXT) | instid1(VALU_DEP_3)
	v_dual_mov_b32 v0, v13 :: v_dual_mov_b32 v7, v14
	v_mov_b32_e32 v11, v4
	s_delay_alu instid0(VALU_DEP_2) | instskip(NEXT) | instid1(VALU_DEP_4)
	v_mad_co_u64_u32 v[3:4], null, s19, v17, v[0:1]
	v_mov_b32_e32 v0, v16
	v_add_co_u32 v1, s0, v18, v1
	v_lshlrev_b64_e32 v[4:5], 4, v[6:7]
	s_wait_alu 0xf1ff
	v_add_co_ci_u32_e64 v2, s0, v24, v2, s0
	v_mov_b32_e32 v13, v3
	v_mad_co_u64_u32 v[6:7], null, s19, v19, v[0:1]
	v_lshlrev_b64_e32 v[7:8], 4, v[10:11]
	v_add_co_u32 v3, s0, v18, v4
	s_wait_alu 0xf1ff
	v_add_co_ci_u32_e64 v4, s0, v24, v5, s0
	v_lshlrev_b64_e32 v[9:10], 4, v[12:13]
	v_mov_b32_e32 v16, v6
	v_add_co_u32 v5, s0, v18, v7
	s_wait_alu 0xf1ff
	v_add_co_ci_u32_e64 v6, s0, v24, v8, s0
	s_delay_alu instid0(VALU_DEP_3) | instskip(SKIP_3) | instid1(VALU_DEP_3)
	v_lshlrev_b64_e32 v[7:8], 4, v[15:16]
	v_add_co_u32 v9, s0, v18, v9
	s_wait_alu 0xf1ff
	v_add_co_ci_u32_e64 v10, s0, v24, v10, s0
	v_add_co_u32 v16, s0, v18, v7
	s_wait_alu 0xf1ff
	v_add_co_ci_u32_e64 v17, s0, v24, v8, s0
	s_clause 0x4
	global_load_b128 v[28:31], v[1:2], off
	global_load_b128 v[24:27], v[3:4], off
	;; [unrolled: 1-line block ×5, first 2 shown]
.LBB0_12:
	s_or_b32 exec_lo, exec_lo, s14
	v_mov_b32_e32 v160, v161
.LBB0_13:
	s_wait_alu 0xfffe
	s_or_b32 exec_lo, exec_lo, s1
	s_wait_loadcnt 0x0
	v_add_f64_e32 v[82:83], v[4:5], v[44:45]
	v_add_f64_e64 v[102:103], v[44:45], -v[4:5]
	s_mov_b32 s4, 0x1ea71119
	s_mov_b32 s18, 0x42a4c3d2
	;; [unrolled: 1-line block ×8, first 2 shown]
	v_add_f64_e32 v[86:87], v[6:7], v[46:47]
	v_add_f64_e64 v[104:105], v[46:47], -v[6:7]
	v_add_f64_e32 v[78:79], v[8:9], v[52:53]
	v_add_f64_e64 v[110:111], v[52:53], -v[8:9]
	s_mov_b32 s14, 0xb2365da1
	s_mov_b32 s26, 0x2ef20147
	;; [unrolled: 1-line block ×8, first 2 shown]
	v_add_f64_e32 v[108:109], v[10:11], v[54:55]
	v_add_f64_e64 v[144:145], v[54:55], -v[10:11]
	v_add_f64_e32 v[106:107], v[12:13], v[48:49]
	v_add_f64_e64 v[154:155], v[48:49], -v[12:13]
	s_mov_b32 s41, 0x3fedeba7
	s_mov_b32 s40, s26
	v_add_f64_e64 v[150:151], v[50:51], -v[14:15]
	v_add_f64_e32 v[112:113], v[14:15], v[50:51]
	v_add_f64_e32 v[80:81], v[24:25], v[56:57]
	v_add_f64_e64 v[100:101], v[56:57], -v[24:25]
	s_mov_b32 s20, 0xd0032e0c
	s_mov_b32 s36, 0x24c2f84
	;; [unrolled: 1-line block ×6, first 2 shown]
	s_wait_alu 0xfffe
	v_mul_f64_e32 v[134:135], s[4:5], v[82:83]
	v_mul_f64_e32 v[140:141], s[18:19], v[102:103]
	;; [unrolled: 1-line block ×4, first 2 shown]
	s_mov_b32 s39, 0x3fddbe06
	s_mov_b32 s38, 0x4267c47c
	v_add_f64_e64 v[98:99], v[58:59], -v[26:27]
	v_add_f64_e32 v[90:91], v[26:27], v[58:59]
	v_add_f64_e32 v[64:65], v[28:29], v[40:41]
	v_add_f64_e64 v[88:89], v[40:41], -v[28:29]
	s_mov_b32 s35, 0x3fefc445
	s_mov_b32 s34, s28
	v_mul_f64_e32 v[114:115], s[14:15], v[78:79]
	v_mul_f64_e32 v[116:117], s[26:27], v[110:111]
	;; [unrolled: 1-line block ×4, first 2 shown]
	v_add_f64_e64 v[92:93], v[42:43], -v[30:31]
	v_add_f64_e32 v[74:75], v[30:31], v[42:43]
	v_add_f64_e64 v[94:95], v[36:37], -v[32:33]
	s_mov_b32 s31, 0xbfe5384d
	s_mov_b32 s30, s36
	s_mov_b32 s33, exec_lo
	v_mul_f64_e32 v[120:121], s[12:13], v[106:107]
	v_mul_f64_e32 v[122:123], s[22:23], v[154:155]
	;; [unrolled: 1-line block ×7, first 2 shown]
	s_wait_alu 0xfffe
	v_mul_f64_e32 v[156:157], s[38:39], v[100:101]
	v_fma_f64 v[0:1], v[104:105], s[18:19], v[134:135]
	v_fma_f64 v[2:3], v[86:87], s[4:5], -v[140:141]
	v_fma_f64 v[16:17], v[104:105], s[28:29], v[146:147]
	v_fma_f64 v[18:19], v[86:87], s[10:11], -v[152:153]
	v_mul_f64_e32 v[136:137], s[10:11], v[64:65]
	v_mul_f64_e32 v[138:139], s[34:35], v[88:89]
	;; [unrolled: 1-line block ×4, first 2 shown]
	v_fma_f64 v[62:63], v[144:145], s[26:27], v[114:115]
	v_fma_f64 v[66:67], v[108:109], s[14:15], -v[116:117]
	v_fma_f64 v[68:69], v[144:145], s[22:23], v[118:119]
	v_fma_f64 v[70:71], v[108:109], s[12:13], -v[124:125]
	;; [unrolled: 2-line block ×6, first 2 shown]
	v_add_f64_e32 v[0:1], v[20:21], v[0:1]
	v_add_f64_e32 v[2:3], v[22:23], v[2:3]
	;; [unrolled: 1-line block ×4, first 2 shown]
	v_fma_f64 v[172:173], v[74:75], s[10:11], -v[138:139]
	v_fma_f64 v[174:175], v[92:93], s[18:19], v[142:143]
	v_fma_f64 v[176:177], v[74:75], s[4:5], -v[158:159]
	v_add_f64_e32 v[0:1], v[62:63], v[0:1]
	v_add_f64_e32 v[2:3], v[66:67], v[2:3]
	;; [unrolled: 1-line block ×6, first 2 shown]
	v_mul_f64_e32 v[70:71], s[38:39], v[94:95]
	v_add_f64_e32 v[0:1], v[72:73], v[0:1]
	v_add_f64_e32 v[2:3], v[76:77], v[2:3]
	;; [unrolled: 1-line block ×4, first 2 shown]
	v_add_f64_e64 v[96:97], v[38:39], -v[34:35]
	v_mul_f64_e32 v[68:69], s[24:25], v[62:63]
	v_mul_f64_e32 v[72:73], s[20:21], v[62:63]
	;; [unrolled: 1-line block ×3, first 2 shown]
	v_fma_f64 v[162:163], v[92:93], s[34:35], v[136:137]
	v_add_f64_e32 v[0:1], v[164:165], v[0:1]
	v_add_f64_e32 v[2:3], v[166:167], v[2:3]
	;; [unrolled: 1-line block ×4, first 2 shown]
	v_fma_f64 v[166:167], v[66:67], s[24:25], -v[70:71]
	v_fma_f64 v[164:165], v[96:97], s[38:39], v[68:69]
	v_fma_f64 v[168:169], v[96:97], s[30:31], v[72:73]
	v_fma_f64 v[170:171], v[66:67], s[20:21], -v[76:77]
	v_add_f64_e32 v[0:1], v[162:163], v[0:1]
	v_add_f64_e32 v[2:3], v[172:173], v[2:3]
	;; [unrolled: 1-line block ×4, first 2 shown]
	s_delay_alu instid0(VALU_DEP_4) | instskip(NEXT) | instid1(VALU_DEP_4)
	v_add_f64_e32 v[16:17], v[164:165], v[0:1]
	v_add_f64_e32 v[18:19], v[166:167], v[2:3]
	s_delay_alu instid0(VALU_DEP_4) | instskip(NEXT) | instid1(VALU_DEP_4)
	v_add_f64_e32 v[0:1], v[168:169], v[162:163]
	v_add_f64_e32 v[2:3], v[170:171], v[172:173]
	v_cmpx_gt_u32_e32 0x84, v161
	s_cbranch_execz .LBB0_15
; %bb.14:
	v_add_f64_e32 v[46:47], v[46:47], v[22:23]
	v_add_f64_e32 v[44:45], v[44:45], v[20:21]
	v_mul_f64_e32 v[162:163], s[22:23], v[102:103]
	v_mul_f64_e32 v[164:165], s[18:19], v[104:105]
	;; [unrolled: 1-line block ×27, first 2 shown]
	s_mov_b32 s1, 0x3fcea1e5
	s_mov_b32 s0, s22
	v_add_f64_e32 v[46:47], v[54:55], v[46:47]
	v_add_f64_e32 v[44:45], v[52:53], v[44:45]
	v_mul_f64_e32 v[52:53], s[4:5], v[86:87]
	v_mul_f64_e32 v[54:55], s[28:29], v[104:105]
	v_add_f64_e64 v[134:135], v[134:135], -v[164:165]
	v_add_f64_e32 v[158:159], v[168:169], v[158:159]
	v_mul_f64_e32 v[168:169], s[34:35], v[144:145]
	v_mul_f64_e32 v[164:165], s[18:19], v[150:151]
	v_add_f64_e32 v[124:125], v[186:187], v[124:125]
	v_fma_f64 v[186:187], v[86:87], s[12:13], -v[162:163]
	v_fma_f64 v[162:163], v[86:87], s[12:13], v[162:163]
	v_add_f64_e64 v[142:143], v[142:143], -v[192:193]
	v_fma_f64 v[192:193], v[86:87], s[20:21], -v[172:173]
	v_fma_f64 v[172:173], v[86:87], s[20:21], v[172:173]
	v_add_f64_e64 v[126:127], v[126:127], -v[196:197]
	v_fma_f64 v[196:197], v[82:83], s[12:13], v[188:189]
	v_fma_f64 v[188:189], v[82:83], s[12:13], -v[188:189]
	v_add_f64_e64 v[118:119], v[118:119], -v[198:199]
	v_fma_f64 v[198:199], v[82:83], s[20:21], v[190:191]
	v_fma_f64 v[190:191], v[82:83], s[20:21], -v[190:191]
	v_add_f64_e32 v[156:157], v[178:179], v[156:157]
	v_mul_f64_e32 v[178:179], s[36:37], v[144:145]
	v_add_f64_e32 v[138:139], v[200:201], v[138:139]
	v_fma_f64 v[200:201], v[82:83], s[14:15], v[194:195]
	v_fma_f64 v[194:195], v[82:83], s[14:15], -v[194:195]
	v_add_f64_e64 v[136:137], v[136:137], -v[208:209]
	v_mul_f64_e32 v[144:145], s[18:19], v[144:145]
	v_add_f64_e64 v[128:129], v[128:129], -v[210:211]
	v_add_f64_e32 v[130:131], v[202:203], v[130:131]
	v_add_f64_e32 v[122:123], v[204:205], v[122:123]
	;; [unrolled: 1-line block ×3, first 2 shown]
	v_add_f64_e64 v[120:121], v[120:121], -v[212:213]
	v_add_f64_e64 v[114:115], v[114:115], -v[214:215]
	v_fma_f64 v[206:207], v[112:113], s[24:25], -v[176:177]
	v_add_f64_e32 v[46:47], v[50:51], v[46:47]
	v_add_f64_e32 v[44:45], v[48:49], v[44:45]
	v_mul_f64_e32 v[50:51], s[10:11], v[86:87]
	v_add_f64_e64 v[54:55], v[146:147], -v[54:55]
	v_mul_f64_e32 v[146:147], s[36:37], v[110:111]
	v_add_f64_e32 v[52:53], v[52:53], v[140:141]
	v_mul_f64_e32 v[140:141], s[30:31], v[150:151]
	v_mul_f64_e32 v[150:151], s[28:29], v[150:151]
	v_fma_f64 v[176:177], v[112:113], s[24:25], v[176:177]
	v_fma_f64 v[212:213], v[78:79], s[24:25], v[166:167]
	v_fma_f64 v[166:167], v[78:79], s[24:25], -v[166:167]
	v_fma_f64 v[214:215], v[78:79], s[10:11], v[168:169]
	v_fma_f64 v[168:169], v[78:79], s[10:11], -v[168:169]
	v_add_f64_e32 v[186:187], v[22:23], v[186:187]
	v_add_f64_e32 v[134:135], v[20:21], v[134:135]
	;; [unrolled: 1-line block ×8, first 2 shown]
	v_mul_f64_e32 v[182:183], s[28:29], v[100:101]
	v_add_f64_e32 v[198:199], v[20:21], v[198:199]
	v_add_f64_e32 v[190:191], v[20:21], v[190:191]
	;; [unrolled: 1-line block ×6, first 2 shown]
	v_mul_f64_e32 v[56:57], s[38:39], v[98:99]
	v_mul_f64_e32 v[44:45], s[38:39], v[96:97]
	;; [unrolled: 1-line block ×3, first 2 shown]
	s_mov_b32 s39, 0xbfddbe06
	v_add_f64_e32 v[50:51], v[50:51], v[152:153]
	s_wait_alu 0xfffe
	v_mul_f64_e32 v[102:103], s[38:39], v[102:103]
	v_mul_f64_e32 v[104:105], s[38:39], v[104:105]
	;; [unrolled: 1-line block ×4, first 2 shown]
	v_add_f64_e32 v[52:53], v[22:23], v[52:53]
	v_add_f64_e32 v[54:55], v[20:21], v[54:55]
	;; [unrolled: 1-line block ×4, first 2 shown]
	v_mul_f64_e32 v[212:213], s[26:27], v[98:99]
	v_add_f64_e32 v[166:167], v[166:167], v[188:189]
	v_add_f64_e32 v[198:199], v[214:215], v[198:199]
	v_add_f64_e32 v[168:169], v[168:169], v[190:191]
	v_fma_f64 v[134:135], v[90:91], s[10:11], -v[182:183]
	v_fma_f64 v[182:183], v[90:91], s[10:11], v[182:183]
	v_mul_f64_e32 v[190:191], s[30:31], v[92:93]
	v_add_f64_e32 v[42:43], v[42:43], v[46:47]
	v_add_f64_e32 v[40:41], v[40:41], v[48:49]
	v_mul_f64_e32 v[46:47], s[30:31], v[154:155]
	v_mul_f64_e32 v[48:49], s[18:19], v[154:155]
	;; [unrolled: 1-line block ×3, first 2 shown]
	v_add_f64_e64 v[56:57], v[132:133], -v[56:57]
	v_fma_f64 v[132:133], v[86:87], s[14:15], -v[180:181]
	v_fma_f64 v[180:181], v[86:87], s[14:15], v[180:181]
	v_fma_f64 v[208:209], v[86:87], s[24:25], -v[102:103]
	v_fma_f64 v[86:87], v[86:87], s[24:25], v[102:103]
	v_fma_f64 v[210:211], v[82:83], s[24:25], v[104:105]
	v_fma_f64 v[82:83], v[82:83], s[24:25], -v[104:105]
	v_add_f64_e32 v[50:51], v[22:23], v[50:51]
	s_mov_b32 s19, 0x3fea55e2
	v_add_f64_e32 v[52:53], v[116:117], v[52:53]
	s_wait_alu 0xfffe
	v_mul_f64_e32 v[188:189], s[18:19], v[100:101]
	v_mul_f64_e32 v[214:215], s[18:19], v[98:99]
	v_add_f64_e32 v[54:55], v[118:119], v[54:55]
	v_add_f64_e32 v[114:115], v[120:121], v[114:115]
	v_mul_f64_e32 v[118:119], s[20:21], v[66:67]
	v_mul_f64_e32 v[116:117], s[30:31], v[96:97]
	v_add_f64_e64 v[44:45], v[68:69], -v[44:45]
	v_add_f64_e32 v[38:39], v[38:39], v[42:43]
	v_add_f64_e32 v[36:37], v[36:37], v[40:41]
	v_fma_f64 v[202:203], v[112:113], s[20:21], -v[46:47]
	v_fma_f64 v[46:47], v[112:113], s[20:21], v[46:47]
	v_fma_f64 v[204:205], v[112:113], s[4:5], -v[48:49]
	v_fma_f64 v[48:49], v[112:113], s[4:5], v[48:49]
	;; [unrolled: 2-line block ×3, first 2 shown]
	v_fma_f64 v[112:113], v[108:109], s[24:25], -v[58:59]
	v_fma_f64 v[40:41], v[108:109], s[10:11], -v[152:153]
	v_fma_f64 v[42:43], v[108:109], s[10:11], v[152:153]
	v_fma_f64 v[152:153], v[108:109], s[20:21], -v[146:147]
	v_fma_f64 v[146:147], v[108:109], s[20:21], v[146:147]
	v_add_f64_e32 v[180:181], v[22:23], v[180:181]
	v_fma_f64 v[58:59], v[108:109], s[24:25], v[58:59]
	v_add_f64_e32 v[132:133], v[22:23], v[132:133]
	v_add_f64_e32 v[208:209], v[22:23], v[208:209]
	;; [unrolled: 1-line block ×3, first 2 shown]
	v_fma_f64 v[86:87], v[78:79], s[20:21], v[178:179]
	v_fma_f64 v[178:179], v[78:79], s[20:21], -v[178:179]
	v_fma_f64 v[154:155], v[108:109], s[4:5], -v[110:111]
	v_fma_f64 v[108:109], v[108:109], s[4:5], v[110:111]
	v_fma_f64 v[110:111], v[106:107], s[20:21], v[140:141]
	v_fma_f64 v[140:141], v[106:107], s[20:21], -v[140:141]
	v_add_f64_e32 v[210:211], v[20:21], v[210:211]
	v_add_f64_e32 v[20:21], v[20:21], v[82:83]
	v_fma_f64 v[82:83], v[106:107], s[4:5], v[164:165]
	v_fma_f64 v[164:165], v[106:107], s[4:5], -v[164:165]
	v_add_f64_e32 v[50:51], v[124:125], v[50:51]
	v_add_f64_e32 v[52:53], v[122:123], v[52:53]
	;; [unrolled: 1-line block ×3, first 2 shown]
	v_mul_f64_e32 v[124:125], s[26:27], v[96:97]
	v_fma_f64 v[122:123], v[64:65], s[24:25], v[174:175]
	v_fma_f64 v[126:127], v[64:65], s[24:25], -v[174:175]
	v_add_f64_e32 v[76:77], v[118:119], v[76:77]
	v_add_f64_e64 v[72:73], v[72:73], -v[116:117]
	v_add_f64_e32 v[34:35], v[34:35], v[38:39]
	v_add_f64_e32 v[32:33], v[32:33], v[36:37]
	v_fma_f64 v[36:37], v[106:107], s[24:25], v[184:185]
	v_fma_f64 v[38:39], v[106:107], s[24:25], -v[184:185]
	v_fma_f64 v[184:185], v[106:107], s[10:11], v[150:151]
	v_fma_f64 v[106:107], v[106:107], s[10:11], -v[150:151]
	;; [unrolled: 2-line block ×3, first 2 shown]
	v_mul_f64_e32 v[144:145], s[26:27], v[100:101]
	v_add_f64_e32 v[112:113], v[112:113], v[186:187]
	v_mul_f64_e32 v[186:187], s[28:29], v[98:99]
	v_mul_f64_e32 v[100:101], s[0:1], v[100:101]
	v_add_f64_e32 v[42:43], v[42:43], v[172:173]
	v_mul_f64_e32 v[98:99], s[0:1], v[98:99]
	v_add_f64_e32 v[146:147], v[146:147], v[180:181]
	v_add_f64_e32 v[58:59], v[58:59], v[162:163]
	;; [unrolled: 1-line block ×8, first 2 shown]
	v_mul_f64_e32 v[162:163], s[26:27], v[88:89]
	v_mul_f64_e32 v[192:193], s[30:31], v[88:89]
	v_mul_f64_e32 v[88:89], s[0:1], v[88:89]
	v_mul_f64_e32 v[172:173], s[26:27], v[92:93]
	v_mul_f64_e32 v[92:93], s[0:1], v[92:93]
	v_add_f64_e32 v[82:83], v[82:83], v[198:199]
	v_add_f64_e32 v[50:51], v[148:149], v[50:51]
	;; [unrolled: 1-line block ×4, first 2 shown]
	v_mul_f64_e32 v[200:201], s[24:25], v[66:67]
	v_add_f64_e32 v[52:53], v[130:131], v[52:53]
	v_mul_f64_e32 v[180:181], s[34:35], v[94:95]
	v_add_f64_e32 v[54:55], v[56:57], v[54:55]
	v_mul_f64_e32 v[152:153], s[34:35], v[96:97]
	v_mul_f64_e32 v[194:195], s[26:27], v[94:95]
	v_fma_f64 v[148:149], v[64:65], s[20:21], -v[190:191]
	v_add_f64_e32 v[30:31], v[30:31], v[34:35]
	v_add_f64_e32 v[28:29], v[28:29], v[32:33]
	v_fma_f64 v[32:33], v[90:91], s[4:5], -v[188:189]
	v_fma_f64 v[34:35], v[90:91], s[4:5], v[188:189]
	v_add_f64_e32 v[150:151], v[150:151], v[210:211]
	v_add_f64_e32 v[20:21], v[78:79], v[20:21]
	v_fma_f64 v[208:209], v[90:91], s[14:15], -v[144:145]
	v_fma_f64 v[144:145], v[90:91], s[14:15], v[144:145]
	v_fma_f64 v[108:109], v[80:81], s[10:11], v[186:187]
	v_fma_f64 v[186:187], v[80:81], s[10:11], -v[186:187]
	v_fma_f64 v[78:79], v[80:81], s[14:15], v[212:213]
	v_fma_f64 v[212:213], v[80:81], s[14:15], -v[212:213]
	v_fma_f64 v[188:189], v[90:91], s[12:13], -v[100:101]
	v_fma_f64 v[90:91], v[90:91], s[12:13], v[100:101]
	v_fma_f64 v[100:101], v[80:81], s[4:5], v[214:215]
	v_fma_f64 v[210:211], v[80:81], s[4:5], -v[214:215]
	v_fma_f64 v[214:215], v[80:81], s[12:13], v[98:99]
	v_fma_f64 v[80:81], v[80:81], s[12:13], -v[98:99]
	v_add_f64_e32 v[42:43], v[48:49], v[42:43]
	v_add_f64_e32 v[48:49], v[164:165], v[168:169]
	;; [unrolled: 1-line block ×11, first 2 shown]
	v_fma_f64 v[196:197], v[74:75], s[14:15], -v[162:163]
	v_fma_f64 v[162:163], v[74:75], s[14:15], v[162:163]
	v_fma_f64 v[58:59], v[74:75], s[24:25], -v[170:171]
	v_fma_f64 v[170:171], v[74:75], s[24:25], v[170:171]
	v_fma_f64 v[102:103], v[74:75], s[20:21], v[192:193]
	v_fma_f64 v[166:167], v[74:75], s[12:13], -v[88:89]
	v_add_f64_e32 v[50:51], v[156:157], v[50:51]
	v_add_f64_e32 v[26:27], v[26:27], v[30:31]
	v_add_f64_e32 v[24:25], v[24:25], v[28:29]
	v_fma_f64 v[30:31], v[74:75], s[20:21], -v[192:193]
	v_fma_f64 v[74:75], v[74:75], s[12:13], v[88:89]
	v_mul_f64_e32 v[98:99], s[22:23], v[94:95]
	v_mul_f64_e32 v[202:203], s[22:23], v[96:97]
	v_add_f64_e32 v[28:29], v[184:185], v[150:151]
	v_add_f64_e32 v[20:21], v[106:107], v[20:21]
	v_mul_f64_e32 v[94:95], s[18:19], v[94:95]
	v_mul_f64_e32 v[96:97], s[18:19], v[96:97]
	v_fma_f64 v[104:105], v[64:65], s[14:15], v[172:173]
	v_fma_f64 v[106:107], v[64:65], s[14:15], -v[172:173]
	v_fma_f64 v[132:133], v[64:65], s[20:21], v[190:191]
	v_fma_f64 v[88:89], v[64:65], s[12:13], v[92:93]
	v_fma_f64 v[64:65], v[64:65], s[12:13], -v[92:93]
	v_add_f64_e32 v[70:71], v[200:201], v[70:71]
	v_add_f64_e32 v[92:93], v[100:101], v[110:111]
	;; [unrolled: 1-line block ×4, first 2 shown]
	v_fma_f64 v[150:151], v[66:67], s[10:11], -v[180:181]
	v_add_f64_e32 v[42:43], v[90:91], v[42:43]
	v_add_f64_e32 v[48:49], v[80:81], v[48:49]
	v_add_f64_e32 v[80:81], v[182:183], v[146:147]
	v_add_f64_e32 v[90:91], v[128:129], v[114:115]
	v_add_f64_e32 v[32:33], v[32:33], v[112:113]
	v_add_f64_e32 v[34:35], v[34:35], v[46:47]
	v_add_f64_e32 v[40:41], v[188:189], v[40:41]
	v_add_f64_e32 v[38:39], v[186:187], v[38:39]
	v_add_f64_e32 v[46:47], v[210:211], v[140:141]
	v_add_f64_e32 v[56:57], v[134:135], v[120:121]
	v_add_f64_e32 v[36:37], v[108:109], v[36:37]
	v_add_f64_e32 v[22:23], v[144:145], v[22:23]
	v_add_f64_e32 v[86:87], v[208:209], v[86:87]
	v_fma_f64 v[164:165], v[66:67], s[10:11], v[180:181]
	v_add_f64_e32 v[54:55], v[142:143], v[54:55]
	v_fma_f64 v[154:155], v[62:63], s[10:11], v[152:153]
	v_fma_f64 v[152:153], v[62:63], s[10:11], -v[152:153]
	v_add_f64_e32 v[50:51], v[158:159], v[50:51]
	v_add_f64_e32 v[14:15], v[14:15], v[26:27]
	v_add_f64_e32 v[12:13], v[12:13], v[24:25]
	v_fma_f64 v[26:27], v[66:67], s[14:15], -v[194:195]
	v_fma_f64 v[100:101], v[62:63], s[14:15], -v[124:125]
	;; [unrolled: 1-line block ×3, first 2 shown]
	v_fma_f64 v[108:109], v[62:63], s[12:13], v[202:203]
	v_add_f64_e32 v[24:25], v[78:79], v[28:29]
	v_add_f64_e32 v[20:21], v[212:213], v[20:21]
	v_fma_f64 v[28:29], v[62:63], s[14:15], v[124:125]
	v_fma_f64 v[78:79], v[66:67], s[14:15], v[194:195]
	;; [unrolled: 1-line block ×3, first 2 shown]
	v_fma_f64 v[110:111], v[62:63], s[12:13], -v[202:203]
	v_fma_f64 v[112:113], v[66:67], s[4:5], -v[94:95]
	v_fma_f64 v[114:115], v[62:63], s[4:5], v[96:97]
	v_fma_f64 v[66:67], v[66:67], s[4:5], v[94:95]
	v_fma_f64 v[62:63], v[62:63], s[4:5], -v[96:97]
	v_add_f64_e32 v[92:93], v[104:105], v[92:93]
	v_add_f64_e32 v[42:43], v[170:171], v[42:43]
	;; [unrolled: 1-line block ×16, first 2 shown]
	v_mad_u32_u24 v52, 0xd0, v161, 0
	v_add_f64_e32 v[94:95], v[10:11], v[14:15]
	v_add_f64_e32 v[96:97], v[8:9], v[12:13]
	;; [unrolled: 1-line block ×25, first 2 shown]
	ds_store_b128 v52, v[0:3] offset:160
	ds_store_b128 v52, v[16:19] offset:176
	;; [unrolled: 1-line block ×11, first 2 shown]
	ds_store_b128 v52, v[4:7]
	ds_store_b128 v52, v[44:47] offset:192
.LBB0_15:
	s_or_b32 exec_lo, exec_lo, s33
	v_lshl_add_u32 v72, v161, 4, 0
	global_wb scope:SCOPE_SE
	s_wait_dscnt 0x0
	s_barrier_signal -1
	s_barrier_wait -1
	global_inv scope:SCOPE_SE
	ds_load_b128 v[4:7], v72
	ds_load_b128 v[24:27], v72 offset:2496
	ds_load_b128 v[8:11], v72 offset:16224
	;; [unrolled: 1-line block ×9, first 2 shown]
	v_cmp_gt_u32_e64 s0, 0x4e, v161
	s_delay_alu instid0(VALU_DEP_1)
	s_and_saveexec_b32 s1, s0
	s_cbranch_execz .LBB0_17
; %bb.16:
	ds_load_b128 v[0:3], v72 offset:12480
	ds_load_b128 v[16:19], v72 offset:26208
.LBB0_17:
	s_wait_alu 0xfffe
	s_or_b32 exec_lo, exec_lo, s1
	v_and_b32_e32 v49, 0xff, v161
	v_add_nc_u32_e32 v52, 0x138, v161
	v_add_nc_u32_e32 v48, 0x9c, v161
	v_add_nc_u32_e32 v53, 0x1d4, v161
	v_add_nc_u32_e32 v54, 0x270, v161
	v_mul_lo_u16 v50, 0x4f, v49
	v_and_b32_e32 v51, 0xffff, v52
	v_add_nc_u32_e32 v55, 0x30c, v161
	v_and_b32_e32 v49, 0xffff, v48
	v_and_b32_e32 v56, 0xffff, v53
	v_lshrrev_b16 v59, 10, v50
	v_and_b32_e32 v57, 0xffff, v54
	v_mul_u32_u24_e32 v51, 0x4ec5, v51
	v_and_b32_e32 v58, 0xffff, v55
	v_mul_u32_u24_e32 v49, 0x4ec5, v49
	v_mul_lo_u16 v62, v59, 13
	v_mul_u32_u24_e32 v56, 0x4ec5, v56
	v_mul_u32_u24_e32 v57, 0x4ec5, v57
	v_lshrrev_b32_e32 v96, 18, v51
	v_mul_u32_u24_e32 v58, 0x4ec5, v58
	v_sub_nc_u16 v62, v161, v62
	v_lshrrev_b32_e32 v83, 18, v49
	v_lshrrev_b32_e32 v97, 18, v56
	;; [unrolled: 1-line block ×4, first 2 shown]
	v_and_b32_e32 v57, 0xff, v62
	v_mul_lo_u16 v62, v96, 13
	v_mul_lo_u16 v56, v83, 13
	;; [unrolled: 1-line block ×3, first 2 shown]
	s_delay_alu instid0(VALU_DEP_4) | instskip(NEXT) | instid1(VALU_DEP_4)
	v_lshlrev_b32_e32 v99, 4, v57
	v_sub_nc_u16 v52, v52, v62
	v_mul_lo_u16 v57, v98, 13
	v_mul_lo_u16 v62, v51, 13
	v_sub_nc_u16 v56, v48, v56
	v_sub_nc_u16 v53, v53, v58
	v_and_b32_e32 v52, 0xffff, v52
	v_sub_nc_u16 v54, v54, v57
	v_sub_nc_u16 v55, v55, v62
	v_and_b32_e32 v56, 0xffff, v56
	v_and_b32_e32 v57, 0xffff, v53
	v_lshlrev_b32_e32 v101, 4, v52
	v_and_b32_e32 v52, 0xffff, v54
	v_and_b32_e32 v58, 0xffff, v55
	v_lshlrev_b32_e32 v100, 4, v56
	v_lshlrev_b32_e32 v102, 4, v57
	global_load_b128 v[53:56], v99, s[8:9]
	v_lshlrev_b32_e32 v103, 4, v52
	v_lshlrev_b32_e32 v52, 4, v58
	s_clause 0x4
	global_load_b128 v[62:65], v100, s[8:9]
	global_load_b128 v[66:69], v101, s[8:9]
	;; [unrolled: 1-line block ×5, first 2 shown]
	global_wb scope:SCOPE_SE
	s_wait_loadcnt_dscnt 0x0
	s_barrier_signal -1
	s_barrier_wait -1
	global_inv scope:SCOPE_SE
	v_mul_f64_e32 v[57:58], v[46:47], v[55:56]
	v_mul_f64_e32 v[55:56], v[44:45], v[55:56]
	;; [unrolled: 1-line block ×12, first 2 shown]
	v_fma_f64 v[44:45], v[44:45], v[53:54], -v[57:58]
	v_fma_f64 v[46:47], v[46:47], v[53:54], v[55:56]
	v_fma_f64 v[8:9], v[8:9], v[62:63], -v[70:71]
	v_fma_f64 v[10:11], v[10:11], v[62:63], v[64:65]
	;; [unrolled: 2-line block ×6, first 2 shown]
	v_add_f64_e64 v[40:41], v[4:5], -v[44:45]
	v_add_f64_e64 v[42:43], v[6:7], -v[46:47]
	;; [unrolled: 1-line block ×12, first 2 shown]
	v_fma_f64 v[62:63], v[4:5], 2.0, -v[40:41]
	v_fma_f64 v[64:65], v[6:7], 2.0, -v[42:43]
	;; [unrolled: 1-line block ×12, first 2 shown]
	v_and_b32_e32 v28, 0xffff, v59
	v_mul_u32_u24_e32 v29, 0x1a0, v83
	v_mul_u32_u24_e32 v30, 0x1a0, v96
	;; [unrolled: 1-line block ×5, first 2 shown]
	v_add3_u32 v29, 0, v29, v100
	v_add3_u32 v30, 0, v30, v101
	;; [unrolled: 1-line block ×5, first 2 shown]
	ds_store_b128 v28, v[62:65]
	ds_store_b128 v28, v[40:43] offset:208
	ds_store_b128 v29, v[24:27]
	ds_store_b128 v29, v[44:47] offset:208
	;; [unrolled: 2-line block ×5, first 2 shown]
	s_and_saveexec_b32 s1, s0
	s_cbranch_execz .LBB0_19
; %bb.18:
	v_mul_lo_u16 v24, v51, 26
	s_delay_alu instid0(VALU_DEP_1) | instskip(NEXT) | instid1(VALU_DEP_1)
	v_and_b32_e32 v24, 0xffff, v24
	v_lshlrev_b32_e32 v24, 4, v24
	s_delay_alu instid0(VALU_DEP_1)
	v_add3_u32 v24, 0, v52, v24
	ds_store_b128 v24, v[0:3]
	ds_store_b128 v24, v[20:23] offset:208
.LBB0_19:
	s_wait_alu 0xfffe
	s_or_b32 exec_lo, exec_lo, s1
	global_wb scope:SCOPE_SE
	s_wait_dscnt 0x0
	s_barrier_signal -1
	s_barrier_wait -1
	global_inv scope:SCOPE_SE
	ds_load_b128 v[24:27], v72
	ds_load_b128 v[36:39], v72 offset:4576
	ds_load_b128 v[28:31], v72 offset:9152
	ds_load_b128 v[40:43], v72 offset:13728
	ds_load_b128 v[32:35], v72 offset:18304
	ds_load_b128 v[44:47], v72 offset:22880
	v_cmp_gt_u32_e64 s0, 0x82, v161
	s_delay_alu instid0(VALU_DEP_1)
	s_and_saveexec_b32 s1, s0
	s_cbranch_execz .LBB0_21
; %bb.20:
	ds_load_b128 v[4:7], v72 offset:2496
	ds_load_b128 v[8:11], v72 offset:7072
	;; [unrolled: 1-line block ×6, first 2 shown]
.LBB0_21:
	s_wait_alu 0xfffe
	s_or_b32 exec_lo, exec_lo, s1
	v_lshrrev_b16 v79, 11, v50
	s_mov_b32 s4, 0xe8584caa
	s_mov_b32 s5, 0x3febb67a
	;; [unrolled: 1-line block ×3, first 2 shown]
	s_wait_alu 0xfffe
	s_mov_b32 s10, s4
	v_mul_lo_u16 v50, v79, 26
	s_delay_alu instid0(VALU_DEP_1) | instskip(NEXT) | instid1(VALU_DEP_1)
	v_sub_nc_u16 v50, v161, v50
	v_and_b32_e32 v80, 0xff, v50
	s_delay_alu instid0(VALU_DEP_1) | instskip(NEXT) | instid1(VALU_DEP_1)
	v_mul_u32_u24_e32 v50, 5, v80
	v_lshlrev_b32_e32 v58, 4, v50
	s_clause 0x4
	global_load_b128 v[50:53], v58, s[8:9] offset:240
	global_load_b128 v[54:57], v58, s[8:9] offset:272
	;; [unrolled: 1-line block ×5, first 2 shown]
	global_wb scope:SCOPE_SE
	s_wait_loadcnt_dscnt 0x0
	s_barrier_signal -1
	s_barrier_wait -1
	global_inv scope:SCOPE_SE
	v_mul_f64_e32 v[58:59], v[42:43], v[52:53]
	v_mul_f64_e32 v[52:53], v[40:41], v[52:53]
	;; [unrolled: 1-line block ×6, first 2 shown]
	v_fma_f64 v[40:41], v[40:41], v[50:51], -v[58:59]
	v_fma_f64 v[42:43], v[42:43], v[50:51], v[52:53]
	v_fma_f64 v[46:47], v[46:47], v[54:55], v[70:71]
	v_fma_f64 v[44:45], v[44:45], v[54:55], -v[56:57]
	v_mul_f64_e32 v[50:51], v[30:31], v[68:69]
	v_mul_f64_e32 v[52:53], v[28:29], v[68:69]
	;; [unrolled: 1-line block ×4, first 2 shown]
	v_fma_f64 v[36:37], v[36:37], v[62:63], -v[77:78]
	v_fma_f64 v[38:39], v[38:39], v[62:63], v[64:65]
	v_add_f64_e32 v[58:59], v[42:43], v[46:47]
	v_add_f64_e32 v[62:63], v[40:41], v[44:45]
	v_fma_f64 v[28:29], v[28:29], v[66:67], -v[50:51]
	v_fma_f64 v[30:31], v[30:31], v[66:67], v[52:53]
	v_fma_f64 v[32:33], v[32:33], v[73:74], -v[54:55]
	v_fma_f64 v[34:35], v[34:35], v[73:74], v[56:57]
	v_add_f64_e64 v[50:51], v[42:43], -v[46:47]
	v_add_f64_e64 v[52:53], v[40:41], -v[44:45]
	v_fma_f64 v[54:55], v[58:59], -0.5, v[38:39]
	v_fma_f64 v[56:57], v[62:63], -0.5, v[36:37]
	v_add_f64_e32 v[36:37], v[36:37], v[40:41]
	v_add_f64_e32 v[38:39], v[38:39], v[42:43]
	;; [unrolled: 1-line block ×4, first 2 shown]
	s_wait_alu 0xfffe
	v_fma_f64 v[64:65], v[52:53], s[10:11], v[54:55]
	v_fma_f64 v[66:67], v[50:51], s[10:11], v[56:57]
	;; [unrolled: 1-line block ×4, first 2 shown]
	v_add_f64_e32 v[54:55], v[24:25], v[28:29]
	v_add_f64_e64 v[56:57], v[30:31], -v[34:35]
	v_add_f64_e32 v[30:31], v[26:27], v[30:31]
	v_fma_f64 v[24:25], v[58:59], -0.5, v[24:25]
	v_add_f64_e64 v[28:29], v[28:29], -v[32:33]
	v_fma_f64 v[26:27], v[62:63], -0.5, v[26:27]
	v_mul_f64_e32 v[40:41], s[4:5], v[64:65]
	v_mul_f64_e32 v[42:43], -0.5, v[66:67]
	v_mul_f64_e32 v[58:59], s[10:11], v[50:51]
	v_mul_f64_e32 v[62:63], -0.5, v[52:53]
	v_add_f64_e32 v[32:33], v[54:55], v[32:33]
	v_add_f64_e32 v[30:31], v[30:31], v[34:35]
	;; [unrolled: 1-line block ×4, first 2 shown]
	v_fma_f64 v[44:45], v[56:57], s[4:5], v[24:25]
	v_fma_f64 v[54:55], v[28:29], s[10:11], v[26:27]
	;; [unrolled: 1-line block ×4, first 2 shown]
	v_fma_f64 v[40:41], v[50:51], 0.5, v[40:41]
	v_fma_f64 v[42:43], v[52:53], s[4:5], v[42:43]
	v_fma_f64 v[50:51], v[64:65], 0.5, v[58:59]
	v_fma_f64 v[52:53], v[66:67], s[10:11], v[62:63]
	v_add_f64_e32 v[24:25], v[32:33], v[34:35]
	v_add_f64_e32 v[26:27], v[30:31], v[36:37]
	v_add_f64_e64 v[28:29], v[32:33], -v[34:35]
	v_add_f64_e64 v[30:31], v[30:31], -v[36:37]
	v_add_f64_e32 v[32:33], v[44:45], v[40:41]
	v_add_f64_e32 v[36:37], v[46:47], v[42:43]
	;; [unrolled: 1-line block ×4, first 2 shown]
	v_add_f64_e64 v[40:41], v[44:45], -v[40:41]
	v_add_f64_e64 v[44:45], v[46:47], -v[42:43]
	;; [unrolled: 1-line block ×4, first 2 shown]
	v_and_b32_e32 v50, 0xffff, v79
	v_lshlrev_b32_e32 v51, 4, v80
	s_delay_alu instid0(VALU_DEP_2) | instskip(NEXT) | instid1(VALU_DEP_1)
	v_mul_u32_u24_e32 v50, 0x9c0, v50
	v_add3_u32 v50, 0, v50, v51
	ds_store_b128 v50, v[24:27]
	ds_store_b128 v50, v[32:35] offset:416
	ds_store_b128 v50, v[36:39] offset:832
	;; [unrolled: 1-line block ×5, first 2 shown]
	s_and_saveexec_b32 s1, s0
	s_cbranch_execz .LBB0_23
; %bb.22:
	v_lshrrev_b32_e32 v50, 19, v49
	s_delay_alu instid0(VALU_DEP_1) | instskip(NEXT) | instid1(VALU_DEP_1)
	v_mul_lo_u16 v24, v50, 26
	v_sub_nc_u16 v24, v48, v24
	s_delay_alu instid0(VALU_DEP_1) | instskip(NEXT) | instid1(VALU_DEP_1)
	v_and_b32_e32 v51, 0xffff, v24
	v_mul_u32_u24_e32 v24, 5, v51
	s_delay_alu instid0(VALU_DEP_1)
	v_lshlrev_b32_e32 v40, 4, v24
	s_clause 0x4
	global_load_b128 v[24:27], v40, s[8:9] offset:240
	global_load_b128 v[28:31], v40, s[8:9] offset:272
	;; [unrolled: 1-line block ×5, first 2 shown]
	s_wait_loadcnt 0x4
	v_mul_f64_e32 v[44:45], v[12:13], v[26:27]
	s_wait_loadcnt 0x3
	v_mul_f64_e32 v[46:47], v[20:21], v[30:31]
	v_mul_f64_e32 v[26:27], v[14:15], v[26:27]
	;; [unrolled: 1-line block ×3, first 2 shown]
	s_wait_loadcnt 0x2
	v_mul_f64_e32 v[48:49], v[10:11], v[34:35]
	v_mul_f64_e32 v[34:35], v[8:9], v[34:35]
	v_fma_f64 v[14:15], v[14:15], v[24:25], v[44:45]
	v_fma_f64 v[22:23], v[22:23], v[28:29], v[46:47]
	v_fma_f64 v[12:13], v[12:13], v[24:25], -v[26:27]
	v_fma_f64 v[20:21], v[20:21], v[28:29], -v[30:31]
	s_wait_loadcnt 0x1
	v_mul_f64_e32 v[24:25], v[18:19], v[38:39]
	v_mul_f64_e32 v[26:27], v[16:17], v[38:39]
	s_wait_loadcnt 0x0
	v_mul_f64_e32 v[28:29], v[0:1], v[42:43]
	v_mul_f64_e32 v[30:31], v[2:3], v[42:43]
	v_fma_f64 v[10:11], v[10:11], v[32:33], v[34:35]
	v_fma_f64 v[8:9], v[8:9], v[32:33], -v[48:49]
	v_add_f64_e32 v[34:35], v[14:15], v[22:23]
	v_add_f64_e32 v[32:33], v[12:13], v[20:21]
	v_fma_f64 v[16:17], v[16:17], v[36:37], -v[24:25]
	v_fma_f64 v[18:19], v[18:19], v[36:37], v[26:27]
	v_fma_f64 v[2:3], v[2:3], v[40:41], v[28:29]
	v_fma_f64 v[0:1], v[0:1], v[40:41], -v[30:31]
	v_add_f64_e64 v[24:25], v[12:13], -v[20:21]
	v_add_f64_e64 v[28:29], v[14:15], -v[22:23]
	v_fma_f64 v[26:27], v[34:35], -0.5, v[10:11]
	v_add_f64_e32 v[10:11], v[10:11], v[14:15]
	v_fma_f64 v[30:31], v[32:33], -0.5, v[8:9]
	v_add_f64_e32 v[14:15], v[4:5], v[16:17]
	v_add_f64_e32 v[8:9], v[8:9], v[12:13]
	;; [unrolled: 1-line block ×4, first 2 shown]
	v_add_f64_e64 v[12:13], v[18:19], -v[2:3]
	v_fma_f64 v[36:37], v[24:25], s[4:5], v[26:27]
	v_fma_f64 v[24:25], v[24:25], s[10:11], v[26:27]
	;; [unrolled: 1-line block ×4, first 2 shown]
	v_add_f64_e32 v[30:31], v[6:7], v[18:19]
	v_add_f64_e64 v[28:29], v[16:17], -v[0:1]
	v_fma_f64 v[6:7], v[32:33], -0.5, v[6:7]
	v_fma_f64 v[4:5], v[34:35], -0.5, v[4:5]
	v_add_f64_e32 v[10:11], v[10:11], v[22:23]
	v_add_f64_e32 v[14:15], v[14:15], v[0:1]
	;; [unrolled: 1-line block ×3, first 2 shown]
	v_mul_f64_e32 v[16:17], -0.5, v[36:37]
	v_mul_f64_e32 v[32:33], s[4:5], v[24:25]
	v_mul_f64_e32 v[18:19], s[10:11], v[38:39]
	v_mul_f64_e32 v[34:35], -0.5, v[26:27]
	v_add_f64_e32 v[30:31], v[30:31], v[2:3]
	v_fma_f64 v[20:21], v[28:29], s[4:5], v[6:7]
	v_fma_f64 v[22:23], v[28:29], s[10:11], v[6:7]
	;; [unrolled: 1-line block ×3, first 2 shown]
	v_add_f64_e64 v[0:1], v[14:15], -v[8:9]
	v_fma_f64 v[16:17], v[26:27], s[10:11], v[16:17]
	v_fma_f64 v[26:27], v[12:13], s[4:5], v[4:5]
	v_fma_f64 v[24:25], v[24:25], 0.5, v[18:19]
	v_fma_f64 v[32:33], v[38:39], 0.5, v[32:33]
	v_fma_f64 v[34:35], v[36:37], s[4:5], v[34:35]
	v_add_f64_e32 v[6:7], v[30:31], v[10:11]
	v_add_f64_e32 v[4:5], v[14:15], v[8:9]
	v_add_f64_e64 v[2:3], v[30:31], -v[10:11]
	v_add_f64_e64 v[10:11], v[20:21], -v[16:17]
	v_add_f64_e32 v[14:15], v[20:21], v[16:17]
	v_add_f64_e32 v[18:19], v[22:23], v[24:25]
	v_add_f64_e32 v[16:17], v[26:27], v[32:33]
	v_add_f64_e32 v[12:13], v[28:29], v[34:35]
	v_add_f64_e64 v[22:23], v[22:23], -v[24:25]
	v_add_f64_e64 v[20:21], v[26:27], -v[32:33]
	;; [unrolled: 1-line block ×3, first 2 shown]
	v_mul_lo_u16 v24, 0x9c, v50
	v_lshlrev_b32_e32 v25, 4, v51
	s_delay_alu instid0(VALU_DEP_2) | instskip(NEXT) | instid1(VALU_DEP_1)
	v_and_b32_e32 v24, 0xffff, v24
	v_lshlrev_b32_e32 v24, 4, v24
	s_delay_alu instid0(VALU_DEP_1)
	v_add3_u32 v24, 0, v25, v24
	ds_store_b128 v24, v[4:7]
	ds_store_b128 v24, v[16:19] offset:416
	ds_store_b128 v24, v[12:15] offset:832
	;; [unrolled: 1-line block ×5, first 2 shown]
.LBB0_23:
	s_wait_alu 0xfffe
	s_or_b32 exec_lo, exec_lo, s1
	global_wb scope:SCOPE_SE
	s_wait_dscnt 0x0
	s_barrier_signal -1
	s_barrier_wait -1
	global_inv scope:SCOPE_SE
	s_and_saveexec_b32 s0, vcc_lo
	s_cbranch_execz .LBB0_25
; %bb.24:
	v_add_nc_u32_e32 v134, 0x1d4, v160
	v_mul_u32_u24_e32 v0, 10, v161
	v_mul_lo_u32 v88, s3, v60
	v_mul_lo_u32 v89, s2, v61
	v_mad_co_u64_u32 v[86:87], null, s2, v60, 0
	v_mad_co_u64_u32 v[98:99], null, s16, v134, 0
	v_add_nc_u32_e32 v131, 0x9c, v160
	v_mad_co_u64_u32 v[90:91], null, s16, v160, 0
	v_add_nc_u32_e32 v137, 0x3a8, v160
	v_add_nc_u32_e32 v139, 0x4e0, v160
	s_delay_alu instid0(VALU_DEP_4)
	v_mad_co_u64_u32 v[94:95], null, s16, v131, 0
	v_lshlrev_b32_e32 v0, 4, v0
	s_clause 0x9
	global_load_b128 v[32:35], v0, s[8:9] offset:2288
	global_load_b128 v[28:31], v0, s[8:9] offset:2304
	;; [unrolled: 1-line block ×10, first 2 shown]
	ds_load_b128 v[52:55], v72 offset:12480
	ds_load_b128 v[48:51], v72 offset:9984
	;; [unrolled: 1-line block ×9, first 2 shown]
	ds_load_b128 v[0:3], v72
	ds_load_b128 v[72:75], v72 offset:24960
	v_mad_co_u64_u32 v[104:105], null, s16, v137, 0
	v_add_nc_u32_e32 v138, 0x444, v160
	v_mad_co_u64_u32 v[108:109], null, s16, v139, 0
	v_add_nc_u32_e32 v140, 0x57c, v160
	v_add_nc_u32_e32 v141, 0x618, v160
	v_add3_u32 v87, v87, v89, v88
	v_lshlrev_b64_e32 v[84:85], 4, v[84:85]
	s_mov_b32 s8, 0x640f44db
	s_mov_b32 s2, 0xd9c712b6
	v_mad_co_u64_u32 v[88:89], null, s16, v141, 0
	v_lshlrev_b64_e32 v[86:87], 4, v[86:87]
	s_mov_b32 s0, 0x7f775887
	s_mov_b32 s12, 0x8764f0ba
	;; [unrolled: 1-line block ×19, first 2 shown]
	s_wait_alu 0xfffe
	s_mov_b32 s26, s14
	s_mov_b32 s34, s22
	;; [unrolled: 1-line block ×9, first 2 shown]
	s_wait_loadcnt_dscnt 0x902
	v_mul_f64_e32 v[92:93], v[32:33], v[82:83]
	v_mul_f64_e32 v[82:83], v[34:35], v[82:83]
	s_wait_loadcnt 0x7
	v_mul_f64_e32 v[115:116], v[16:17], v[54:55]
	s_wait_loadcnt 0x6
	v_mul_f64_e32 v[117:118], v[12:13], v[58:59]
	v_mul_f64_e32 v[58:59], v[14:15], v[58:59]
	s_wait_loadcnt 0x4
	v_mul_f64_e32 v[121:122], v[4:5], v[46:47]
	s_wait_loadcnt 0x3
	;; [unrolled: 2-line block ×4, first 2 shown]
	v_mul_f64_e32 v[127:128], v[40:41], v[66:67]
	s_wait_loadcnt_dscnt 0x0
	v_mul_f64_e32 v[129:130], v[36:37], v[74:75]
	v_mul_f64_e32 v[46:47], v[6:7], v[46:47]
	;; [unrolled: 1-line block ×9, first 2 shown]
	v_mad_co_u64_u32 v[112:113], null, s17, v160, v[91:92]
	v_mul_f64_e32 v[113:114], v[28:29], v[78:79]
	v_mul_f64_e32 v[78:79], v[30:31], v[78:79]
	v_fma_f64 v[34:35], v[34:35], v[80:81], v[92:93]
	v_mov_b32_e32 v93, v109
	v_fma_f64 v[32:33], v[80:81], v[32:33], -v[82:83]
	v_mov_b32_e32 v83, v105
	v_mad_co_u64_u32 v[106:107], null, s16, v138, 0
	v_add_nc_u32_e32 v135, 0x270, v160
	v_fma_f64 v[26:27], v[26:27], v[68:69], v[123:124]
	v_fma_f64 v[42:43], v[42:43], v[64:65], v[127:128]
	v_fma_f64 v[24:25], v[68:69], v[24:25], -v[70:71]
	v_dual_mov_b32 v91, v95 :: v_dual_mov_b32 v80, v99
	v_mov_b32_e32 v92, v107
	v_mad_co_u64_u32 v[100:101], null, s16, v135, 0
	v_add_nc_u32_e32 v136, 0x30c, v160
	v_mad_co_u64_u32 v[110:111], null, s16, v140, 0
	s_delay_alu instid0(VALU_DEP_4) | instskip(SKIP_3) | instid1(VALU_DEP_1)
	v_mad_co_u64_u32 v[131:132], null, s17, v131, v[91:92]
	v_mov_b32_e32 v91, v112
	v_mov_b32_e32 v81, v101
	v_mad_co_u64_u32 v[102:103], null, s16, v136, 0
	v_dual_mov_b32 v82, v103 :: v_dual_add_nc_u32 v133, 0x138, v160
	s_delay_alu instid0(VALU_DEP_1)
	v_mad_co_u64_u32 v[96:97], null, s16, v133, 0
	v_fma_f64 v[30:31], v[30:31], v[76:77], v[113:114]
	v_fma_f64 v[28:29], v[76:77], v[28:29], -v[78:79]
	v_fma_f64 v[78:79], v[14:15], v[56:57], v[117:118]
	v_fma_f64 v[117:118], v[10:11], v[60:61], v[125:126]
	v_add_f64_e32 v[10:11], v[2:3], v[34:35]
	v_add_f64_e32 v[14:15], v[32:33], v[0:1]
	v_fma_f64 v[76:77], v[18:19], v[52:53], v[115:116]
	v_fma_f64 v[115:116], v[6:7], v[44:45], v[121:122]
	;; [unrolled: 1-line block ×3, first 2 shown]
	v_mad_co_u64_u32 v[38:39], null, s17, v138, v[92:93]
	v_fma_f64 v[44:45], v[44:45], v[4:5], -v[46:47]
	v_fma_f64 v[46:47], v[60:61], v[8:9], -v[62:63]
	;; [unrolled: 1-line block ×3, first 2 shown]
	v_mov_b32_e32 v95, v97
	v_fma_f64 v[113:114], v[22:23], v[48:49], v[119:120]
	v_mad_co_u64_u32 v[119:120], null, s17, v141, v[89:90]
	v_mad_co_u64_u32 v[18:19], null, s17, v137, v[83:84]
	s_delay_alu instid0(VALU_DEP_4)
	v_mad_co_u64_u32 v[132:133], null, s17, v133, v[95:96]
	v_mad_co_u64_u32 v[133:134], null, s17, v134, v[80:81]
	;; [unrolled: 1-line block ×5, first 2 shown]
	v_mov_b32_e32 v97, v111
	v_mov_b32_e32 v99, v133
	;; [unrolled: 1-line block ×3, first 2 shown]
	v_fma_f64 v[52:53], v[52:53], v[16:17], -v[54:55]
	v_fma_f64 v[54:55], v[56:57], v[12:13], -v[58:59]
	v_mad_co_u64_u32 v[92:93], null, s17, v140, v[97:98]
	v_fma_f64 v[48:49], v[48:49], v[20:21], -v[50:51]
	v_fma_f64 v[4:5], v[72:73], v[36:37], -v[74:75]
	v_mov_b32_e32 v109, v82
	v_lshlrev_b64_e32 v[82:83], 4, v[98:99]
	v_add_f64_e32 v[58:59], v[26:27], v[117:118]
	v_add_f64_e32 v[64:65], v[30:31], v[10:11]
	v_add_f64_e32 v[66:67], v[28:29], v[14:15]
	v_add_f64_e64 v[72:73], v[26:27], -v[117:118]
	v_lshlrev_b64_e32 v[14:15], 4, v[88:89]
	v_add_f64_e32 v[62:63], v[34:35], v[6:7]
	v_add_f64_e64 v[34:35], v[34:35], -v[6:7]
	v_add_co_u32 v19, vcc_lo, s6, v86
	v_add_f64_e64 v[88:89], v[24:25], -v[46:47]
	v_add_f64_e32 v[98:99], v[24:25], v[46:47]
	s_wait_alu 0xfffd
	v_add_co_ci_u32_e32 v23, vcc_lo, s7, v87, vcc_lo
	v_add_co_u32 v22, vcc_lo, v19, v84
	v_mov_b32_e32 v95, v131
	v_mov_b32_e32 v97, v132
	v_add_f64_e32 v[60:61], v[30:31], v[42:43]
	v_mov_b32_e32 v105, v18
	v_mov_b32_e32 v111, v92
	v_lshlrev_b64_e32 v[18:19], 4, v[108:109]
	v_add_f64_e64 v[30:31], v[30:31], -v[42:43]
	v_mov_b32_e32 v107, v38
	v_lshlrev_b64_e32 v[36:37], 4, v[90:91]
	v_add_f64_e64 v[90:91], v[28:29], -v[39:40]
	v_add_f64_e32 v[28:29], v[28:29], v[39:40]
	v_add_f64_e32 v[56:57], v[113:114], v[115:116]
	v_lshlrev_b64_e32 v[20:21], 4, v[106:107]
	v_lshlrev_b64_e32 v[8:9], 4, v[104:105]
	s_wait_alu 0xfffd
	v_add_co_ci_u32_e32 v23, vcc_lo, v23, v85, vcc_lo
	v_add_f64_e32 v[50:51], v[76:77], v[78:79]
	v_add_f64_e64 v[68:69], v[76:77], -v[78:79]
	v_add_f64_e64 v[70:71], v[113:114], -v[115:116]
	v_lshlrev_b64_e32 v[74:75], 4, v[94:95]
	v_add_f64_e64 v[92:93], v[32:33], -v[4:5]
	v_add_f64_e32 v[32:33], v[32:33], v[4:5]
	v_lshlrev_b64_e32 v[16:17], 4, v[110:111]
	v_mul_f64_e32 v[104:105], s[0:1], v[58:59]
	v_add_f64_e32 v[26:27], v[26:27], v[64:65]
	v_add_f64_e32 v[24:25], v[24:25], v[66:67]
	v_mul_f64_e32 v[127:128], s[12:13], v[58:59]
	v_mul_f64_e32 v[155:156], s[2:3], v[58:59]
	;; [unrolled: 1-line block ×8, first 2 shown]
	s_wait_alu 0xfffe
	v_mul_f64_e32 v[121:122], s[34:35], v[34:35]
	v_mul_f64_e32 v[139:140], s[26:27], v[34:35]
	;; [unrolled: 1-line block ×16, first 2 shown]
	v_add_f64_e64 v[84:85], v[52:53], -v[54:55]
	v_add_f64_e32 v[94:95], v[52:53], v[54:55]
	v_mul_f64_e32 v[110:111], s[26:27], v[72:73]
	v_mul_f64_e32 v[137:138], s[18:19], v[72:73]
	;; [unrolled: 1-line block ×5, first 2 shown]
	v_mov_b32_e32 v103, v81
	v_add_f64_e64 v[86:87], v[48:49], -v[44:45]
	v_mul_f64_e32 v[125:126], s[20:21], v[56:57]
	v_mul_f64_e32 v[153:154], s[12:13], v[56:57]
	;; [unrolled: 1-line block ×3, first 2 shown]
	v_add_f64_e32 v[26:27], v[113:114], v[26:27]
	v_add_f64_e32 v[24:25], v[48:49], v[24:25]
	v_lshlrev_b64_e32 v[10:11], 4, v[102:103]
	v_mul_f64_e32 v[102:103], s[2:3], v[56:57]
	v_fma_f64 v[183:184], v[92:93], s[22:23], v[108:109]
	v_fma_f64 v[108:109], v[92:93], s[34:35], v[108:109]
	;; [unrolled: 1-line block ×5, first 2 shown]
	v_fma_f64 v[201:202], v[32:33], s[12:13], -v[149:150]
	v_fma_f64 v[189:190], v[32:33], s[20:21], v[121:122]
	v_fma_f64 v[121:122], v[32:33], s[20:21], -v[121:122]
	v_fma_f64 v[193:194], v[32:33], s[0:1], v[139:140]
	v_fma_f64 v[139:140], v[32:33], s[0:1], -v[139:140]
	v_fma_f64 v[203:204], v[32:33], s[2:3], -v[151:152]
	v_fma_f64 v[131:132], v[92:93], s[26:27], v[131:132]
	v_fma_f64 v[195:196], v[92:93], s[30:31], v[145:146]
	v_fma_f64 v[205:206], v[32:33], s[8:9], -v[34:35]
	v_fma_f64 v[145:146], v[92:93], s[10:11], v[145:146]
	v_fma_f64 v[34:35], v[32:33], s[8:9], v[34:35]
	;; [unrolled: 1-line block ×9, first 2 shown]
	v_fma_f64 v[119:120], v[28:29], s[12:13], -v[119:120]
	v_fma_f64 v[92:93], v[90:91], s[10:11], v[129:130]
	v_fma_f64 v[149:150], v[28:29], s[20:21], v[163:164]
	v_fma_f64 v[163:164], v[28:29], s[20:21], -v[163:164]
	v_fma_f64 v[209:210], v[28:29], s[0:1], v[171:172]
	v_fma_f64 v[171:172], v[28:29], s[0:1], -v[171:172]
	v_fma_f64 v[213:214], v[28:29], s[2:3], v[30:31]
	v_fma_f64 v[181:182], v[90:91], s[18:19], v[106:107]
	;; [unrolled: 1-line block ×5, first 2 shown]
	v_add_f64_e32 v[26:27], v[76:77], v[26:27]
	v_add_f64_e32 v[24:25], v[52:53], v[24:25]
	v_fma_f64 v[52:53], v[90:91], s[30:31], v[129:130]
	v_fma_f64 v[76:77], v[28:29], s[8:9], v[141:142]
	v_fma_f64 v[129:130], v[28:29], s[8:9], -v[141:142]
	v_fma_f64 v[28:29], v[28:29], s[2:3], -v[30:31]
	v_add_f64_e32 v[183:184], v[2:3], v[183:184]
	v_add_f64_e32 v[108:109], v[2:3], v[108:109]
	;; [unrolled: 1-line block ×6, first 2 shown]
	v_fma_f64 v[141:142], v[90:91], s[34:35], v[157:158]
	v_add_f64_e32 v[139:140], v[0:1], v[139:140]
	v_fma_f64 v[157:158], v[90:91], s[22:23], v[157:158]
	v_add_f64_e32 v[191:192], v[2:3], v[191:192]
	v_add_f64_e32 v[193:194], v[0:1], v[193:194]
	;; [unrolled: 1-line block ×9, first 2 shown]
	v_mul_f64_e32 v[56:57], s[0:1], v[56:57]
	v_mov_b32_e32 v101, v80
	v_lshlrev_b64_e32 v[80:81], 4, v[96:97]
	v_add_f64_e32 v[96:97], v[48:49], v[44:45]
	v_mul_f64_e32 v[66:67], s[24:25], v[70:71]
	v_mul_f64_e32 v[135:136], s[34:35], v[70:71]
	;; [unrolled: 1-line block ×5, first 2 shown]
	v_fma_f64 v[179:180], v[88:89], s[14:15], v[104:105]
	v_fma_f64 v[104:105], v[88:89], s[26:27], v[104:105]
	;; [unrolled: 1-line block ×5, first 2 shown]
	v_add_f64_e32 v[26:27], v[78:79], v[26:27]
	v_add_f64_e32 v[24:25], v[54:55], v[24:25]
	;; [unrolled: 1-line block ×6, first 2 shown]
	v_fma_f64 v[203:204], v[88:89], s[10:11], v[58:59]
	v_fma_f64 v[58:59], v[88:89], s[30:31], v[58:59]
	v_add_f64_e32 v[60:61], v[60:61], v[199:200]
	v_fma_f64 v[155:156], v[88:89], s[24:25], v[155:156]
	v_fma_f64 v[32:33], v[88:89], s[34:35], v[165:166]
	;; [unrolled: 1-line block ×4, first 2 shown]
	v_fma_f64 v[72:73], v[98:99], s[8:9], -v[72:73]
	v_fma_f64 v[185:186], v[98:99], s[0:1], v[110:111]
	v_fma_f64 v[110:111], v[98:99], s[0:1], -v[110:111]
	v_fma_f64 v[62:63], v[98:99], s[20:21], v[169:170]
	v_fma_f64 v[169:170], v[98:99], s[20:21], -v[169:170]
	v_add_f64_e32 v[181:182], v[181:182], v[183:184]
	v_add_f64_e32 v[183:184], v[187:188], v[189:190]
	v_add_f64_e32 v[106:107], v[106:107], v[108:109]
	v_add_f64_e32 v[108:109], v[119:120], v[121:122]
	v_add_f64_e32 v[119:120], v[129:130], v[139:140]
	v_add_f64_e32 v[129:130], v[167:168], v[197:198]
	v_fma_f64 v[90:91], v[98:99], s[12:13], v[137:138]
	v_fma_f64 v[217:218], v[98:99], s[2:3], v[161:162]
	v_fma_f64 v[161:162], v[98:99], s[2:3], -v[161:162]
	v_add_f64_e32 v[52:53], v[52:53], v[191:192]
	v_add_f64_e32 v[76:77], v[76:77], v[193:194]
	;; [unrolled: 1-line block ×4, first 2 shown]
	v_fma_f64 v[137:138], v[98:99], s[12:13], -v[137:138]
	v_add_f64_e32 v[34:35], v[149:150], v[34:35]
	v_add_f64_e32 v[131:132], v[209:210], v[151:152]
	;; [unrolled: 1-line block ×3, first 2 shown]
	v_fma_f64 v[167:168], v[86:87], s[14:15], v[56:57]
	v_fma_f64 v[56:57], v[86:87], s[26:27], v[56:57]
	v_lshlrev_b64_e32 v[12:13], 4, v[100:101]
	v_add_f64_e32 v[26:27], v[115:116], v[26:27]
	v_add_f64_e32 v[24:25], v[44:45], v[24:25]
	;; [unrolled: 1-line block ×9, first 2 shown]
	v_mul_f64_e32 v[100:101], s[8:9], v[50:51]
	v_mul_f64_e32 v[64:65], s[30:31], v[68:69]
	;; [unrolled: 1-line block ×10, first 2 shown]
	v_fma_f64 v[171:172], v[96:97], s[0:1], v[70:71]
	v_fma_f64 v[70:71], v[96:97], s[0:1], -v[70:71]
	v_fma_f64 v[205:206], v[86:87], s[4:5], v[102:103]
	v_fma_f64 v[221:222], v[96:97], s[2:3], v[66:67]
	v_fma_f64 v[102:103], v[86:87], s[24:25], v[102:103]
	v_fma_f64 v[66:67], v[96:97], s[2:3], -v[66:67]
	v_fma_f64 v[139:140], v[86:87], s[22:23], v[125:126]
	v_fma_f64 v[141:142], v[96:97], s[20:21], v[135:136]
	;; [unrolled: 4-line block ×4, first 2 shown]
	v_fma_f64 v[157:158], v[86:87], s[10:11], v[173:174]
	v_fma_f64 v[163:164], v[96:97], s[8:9], -v[177:178]
	v_add_f64_e32 v[86:87], v[179:180], v[181:182]
	v_add_f64_e32 v[26:27], v[117:118], v[26:27]
	;; [unrolled: 1-line block ×22, first 2 shown]
	v_fma_f64 v[129:130], v[84:85], s[22:23], v[50:51]
	v_fma_f64 v[131:132], v[94:95], s[20:21], v[68:69]
	v_fma_f64 v[50:51], v[84:85], s[34:35], v[50:51]
	v_fma_f64 v[68:69], v[94:95], s[20:21], -v[68:69]
	v_fma_f64 v[98:99], v[84:85], s[10:11], v[100:101]
	v_fma_f64 v[219:220], v[94:95], s[8:9], v[64:65]
	v_fma_f64 v[100:101], v[84:85], s[30:31], v[100:101]
	v_fma_f64 v[64:65], v[94:95], s[8:9], -v[64:65]
	;; [unrolled: 4-line block ×4, first 2 shown]
	v_fma_f64 v[120:121], v[84:85], s[18:19], v[112:113]
	v_add_f64_e32 v[58:59], v[42:43], v[26:27]
	v_add_f64_e32 v[40:41], v[39:40], v[24:25]
	;; [unrolled: 1-line block ×3, first 2 shown]
	v_fma_f64 v[122:123], v[94:95], s[12:13], v[175:176]
	v_fma_f64 v[112:113], v[84:85], s[28:29], v[112:113]
	v_fma_f64 v[127:128], v[94:95], s[12:13], -v[175:176]
	v_add_f64_e32 v[84:85], v[205:206], v[86:87]
	v_add_f64_e32 v[86:87], v[221:222], v[96:97]
	;; [unrolled: 1-line block ×18, first 2 shown]
	v_add_co_u32 v133, vcc_lo, v22, v36
	v_add_f64_e32 v[46:47], v[50:51], v[56:57]
	s_wait_alu 0xfffd
	v_add_co_ci_u32_e32 v134, vcc_lo, v23, v37, vcc_lo
	v_add_co_u32 v74, vcc_lo, v22, v74
	s_wait_alu 0xfffd
	v_add_co_ci_u32_e32 v75, vcc_lo, v23, v75, vcc_lo
	v_add_co_u32 v80, vcc_lo, v22, v80
	;; [unrolled: 3-line block ×3, first 2 shown]
	v_add_f64_e32 v[6:7], v[6:7], v[58:59]
	v_add_f64_e32 v[4:5], v[4:5], v[40:41]
	;; [unrolled: 1-line block ×3, first 2 shown]
	s_wait_alu 0xfffd
	v_add_co_ci_u32_e32 v83, vcc_lo, v23, v83, vcc_lo
	v_add_f64_e32 v[2:3], v[98:99], v[84:85]
	v_add_f64_e32 v[0:1], v[219:220], v[86:87]
	v_add_f64_e32 v[26:27], v[100:101], v[94:95]
	v_add_f64_e32 v[42:43], v[112:113], v[96:97]
	v_add_f64_e32 v[40:41], v[127:128], v[102:103]
	v_add_f64_e32 v[38:39], v[116:117], v[92:93]
	v_add_f64_e32 v[36:37], v[118:119], v[48:49]
	v_add_f64_e32 v[34:35], v[78:79], v[76:77]
	v_add_f64_e32 v[32:33], v[88:89], v[90:91]
	v_add_f64_e32 v[24:25], v[64:65], v[66:67]
	v_add_f64_e32 v[30:31], v[62:63], v[30:31]
	v_add_f64_e32 v[28:29], v[72:73], v[52:53]
	v_add_f64_e32 v[50:51], v[110:111], v[54:55]
	v_add_f64_e32 v[48:49], v[114:115], v[104:105]
	v_add_f64_e32 v[54:55], v[120:121], v[106:107]
	v_add_f64_e32 v[52:53], v[122:123], v[60:61]
	v_add_f64_e32 v[58:59], v[129:130], v[108:109]
	v_add_f64_e32 v[56:57], v[131:132], v[124:125]
	v_add_co_u32 v12, vcc_lo, v22, v12
	s_wait_alu 0xfffd
	v_add_co_ci_u32_e32 v13, vcc_lo, v23, v13, vcc_lo
	v_add_co_u32 v10, vcc_lo, v22, v10
	s_wait_alu 0xfffd
	v_add_co_ci_u32_e32 v11, vcc_lo, v23, v11, vcc_lo
	;; [unrolled: 3-line block ×7, first 2 shown]
	s_clause 0xa
	global_store_b128 v[133:134], v[4:7], off
	global_store_b128 v[74:75], v[44:47], off
	;; [unrolled: 1-line block ×11, first 2 shown]
.LBB0_25:
	s_nop 0
	s_sendmsg sendmsg(MSG_DEALLOC_VGPRS)
	s_endpgm
	.section	.rodata,"a",@progbits
	.p2align	6, 0x0
	.amdhsa_kernel fft_rtc_fwd_len1716_factors_13_2_6_11_wgs_156_tpt_156_dp_op_CI_CI_sbrr_dirReg
		.amdhsa_group_segment_fixed_size 0
		.amdhsa_private_segment_fixed_size 0
		.amdhsa_kernarg_size 104
		.amdhsa_user_sgpr_count 2
		.amdhsa_user_sgpr_dispatch_ptr 0
		.amdhsa_user_sgpr_queue_ptr 0
		.amdhsa_user_sgpr_kernarg_segment_ptr 1
		.amdhsa_user_sgpr_dispatch_id 0
		.amdhsa_user_sgpr_private_segment_size 0
		.amdhsa_wavefront_size32 1
		.amdhsa_uses_dynamic_stack 0
		.amdhsa_enable_private_segment 0
		.amdhsa_system_sgpr_workgroup_id_x 1
		.amdhsa_system_sgpr_workgroup_id_y 0
		.amdhsa_system_sgpr_workgroup_id_z 0
		.amdhsa_system_sgpr_workgroup_info 0
		.amdhsa_system_vgpr_workitem_id 0
		.amdhsa_next_free_vgpr 223
		.amdhsa_next_free_sgpr 43
		.amdhsa_reserve_vcc 1
		.amdhsa_float_round_mode_32 0
		.amdhsa_float_round_mode_16_64 0
		.amdhsa_float_denorm_mode_32 3
		.amdhsa_float_denorm_mode_16_64 3
		.amdhsa_fp16_overflow 0
		.amdhsa_workgroup_processor_mode 1
		.amdhsa_memory_ordered 1
		.amdhsa_forward_progress 0
		.amdhsa_round_robin_scheduling 0
		.amdhsa_exception_fp_ieee_invalid_op 0
		.amdhsa_exception_fp_denorm_src 0
		.amdhsa_exception_fp_ieee_div_zero 0
		.amdhsa_exception_fp_ieee_overflow 0
		.amdhsa_exception_fp_ieee_underflow 0
		.amdhsa_exception_fp_ieee_inexact 0
		.amdhsa_exception_int_div_zero 0
	.end_amdhsa_kernel
	.text
.Lfunc_end0:
	.size	fft_rtc_fwd_len1716_factors_13_2_6_11_wgs_156_tpt_156_dp_op_CI_CI_sbrr_dirReg, .Lfunc_end0-fft_rtc_fwd_len1716_factors_13_2_6_11_wgs_156_tpt_156_dp_op_CI_CI_sbrr_dirReg
                                        ; -- End function
	.section	.AMDGPU.csdata,"",@progbits
; Kernel info:
; codeLenInByte = 10984
; NumSgprs: 45
; NumVgprs: 223
; ScratchSize: 0
; MemoryBound: 1
; FloatMode: 240
; IeeeMode: 1
; LDSByteSize: 0 bytes/workgroup (compile time only)
; SGPRBlocks: 5
; VGPRBlocks: 27
; NumSGPRsForWavesPerEU: 45
; NumVGPRsForWavesPerEU: 223
; Occupancy: 6
; WaveLimiterHint : 1
; COMPUTE_PGM_RSRC2:SCRATCH_EN: 0
; COMPUTE_PGM_RSRC2:USER_SGPR: 2
; COMPUTE_PGM_RSRC2:TRAP_HANDLER: 0
; COMPUTE_PGM_RSRC2:TGID_X_EN: 1
; COMPUTE_PGM_RSRC2:TGID_Y_EN: 0
; COMPUTE_PGM_RSRC2:TGID_Z_EN: 0
; COMPUTE_PGM_RSRC2:TIDIG_COMP_CNT: 0
	.text
	.p2alignl 7, 3214868480
	.fill 96, 4, 3214868480
	.type	__hip_cuid_f877636f8678a25d,@object ; @__hip_cuid_f877636f8678a25d
	.section	.bss,"aw",@nobits
	.globl	__hip_cuid_f877636f8678a25d
__hip_cuid_f877636f8678a25d:
	.byte	0                               ; 0x0
	.size	__hip_cuid_f877636f8678a25d, 1

	.ident	"AMD clang version 19.0.0git (https://github.com/RadeonOpenCompute/llvm-project roc-6.4.0 25133 c7fe45cf4b819c5991fe208aaa96edf142730f1d)"
	.section	".note.GNU-stack","",@progbits
	.addrsig
	.addrsig_sym __hip_cuid_f877636f8678a25d
	.amdgpu_metadata
---
amdhsa.kernels:
  - .args:
      - .actual_access:  read_only
        .address_space:  global
        .offset:         0
        .size:           8
        .value_kind:     global_buffer
      - .offset:         8
        .size:           8
        .value_kind:     by_value
      - .actual_access:  read_only
        .address_space:  global
        .offset:         16
        .size:           8
        .value_kind:     global_buffer
      - .actual_access:  read_only
        .address_space:  global
        .offset:         24
        .size:           8
        .value_kind:     global_buffer
      - .actual_access:  read_only
        .address_space:  global
        .offset:         32
        .size:           8
        .value_kind:     global_buffer
      - .offset:         40
        .size:           8
        .value_kind:     by_value
      - .actual_access:  read_only
        .address_space:  global
        .offset:         48
        .size:           8
        .value_kind:     global_buffer
      - .actual_access:  read_only
        .address_space:  global
        .offset:         56
        .size:           8
        .value_kind:     global_buffer
      - .offset:         64
        .size:           4
        .value_kind:     by_value
      - .actual_access:  read_only
        .address_space:  global
        .offset:         72
        .size:           8
        .value_kind:     global_buffer
      - .actual_access:  read_only
        .address_space:  global
        .offset:         80
        .size:           8
        .value_kind:     global_buffer
      - .actual_access:  read_only
        .address_space:  global
        .offset:         88
        .size:           8
        .value_kind:     global_buffer
      - .actual_access:  write_only
        .address_space:  global
        .offset:         96
        .size:           8
        .value_kind:     global_buffer
    .group_segment_fixed_size: 0
    .kernarg_segment_align: 8
    .kernarg_segment_size: 104
    .language:       OpenCL C
    .language_version:
      - 2
      - 0
    .max_flat_workgroup_size: 156
    .name:           fft_rtc_fwd_len1716_factors_13_2_6_11_wgs_156_tpt_156_dp_op_CI_CI_sbrr_dirReg
    .private_segment_fixed_size: 0
    .sgpr_count:     45
    .sgpr_spill_count: 0
    .symbol:         fft_rtc_fwd_len1716_factors_13_2_6_11_wgs_156_tpt_156_dp_op_CI_CI_sbrr_dirReg.kd
    .uniform_work_group_size: 1
    .uses_dynamic_stack: false
    .vgpr_count:     223
    .vgpr_spill_count: 0
    .wavefront_size: 32
    .workgroup_processor_mode: 1
amdhsa.target:   amdgcn-amd-amdhsa--gfx1201
amdhsa.version:
  - 1
  - 2
...

	.end_amdgpu_metadata
